;; amdgpu-corpus repo=ROCm/rocFFT kind=compiled arch=gfx1201 opt=O3
	.text
	.amdgcn_target "amdgcn-amd-amdhsa--gfx1201"
	.amdhsa_code_object_version 6
	.protected	bluestein_single_back_len833_dim1_sp_op_CI_CI ; -- Begin function bluestein_single_back_len833_dim1_sp_op_CI_CI
	.globl	bluestein_single_back_len833_dim1_sp_op_CI_CI
	.p2align	8
	.type	bluestein_single_back_len833_dim1_sp_op_CI_CI,@function
bluestein_single_back_len833_dim1_sp_op_CI_CI: ; @bluestein_single_back_len833_dim1_sp_op_CI_CI
; %bb.0:
	s_load_b128 s[8:11], s[0:1], 0x28
	v_mul_u32_u24_e32 v1, 0x227, v0
	s_mov_b32 s2, exec_lo
	v_mov_b32_e32 v57, 0
	s_delay_alu instid0(VALU_DEP_2) | instskip(NEXT) | instid1(VALU_DEP_1)
	v_lshrrev_b32_e32 v1, 16, v1
	v_add_nc_u32_e32 v56, ttmp9, v1
	s_wait_kmcnt 0x0
	s_delay_alu instid0(VALU_DEP_1)
	v_cmpx_gt_u64_e64 s[8:9], v[56:57]
	s_cbranch_execz .LBB0_15
; %bb.1:
	s_clause 0x1
	s_load_b64 s[8:9], s[0:1], 0x0
	s_load_b64 s[12:13], s[0:1], 0x38
	v_mul_lo_u16 v1, 0x77, v1
	s_delay_alu instid0(VALU_DEP_1) | instskip(NEXT) | instid1(VALU_DEP_1)
	v_sub_nc_u16 v0, v0, v1
	v_and_b32_e32 v74, 0xffff, v0
	v_cmp_gt_u16_e32 vcc_lo, 49, v0
	s_delay_alu instid0(VALU_DEP_2)
	v_lshlrev_b32_e32 v73, 3, v74
	s_and_saveexec_b32 s3, vcc_lo
	s_cbranch_execz .LBB0_3
; %bb.2:
	s_load_b64 s[4:5], s[0:1], 0x18
	s_delay_alu instid0(VALU_DEP_1)
	v_add_nc_u32_e32 v72, 0xc00, v73
	s_wait_kmcnt 0x0
	s_load_b128 s[4:7], s[4:5], 0x0
	s_wait_kmcnt 0x0
	v_mad_co_u64_u32 v[0:1], null, s6, v56, 0
	v_mad_co_u64_u32 v[2:3], null, s4, v74, 0
	s_delay_alu instid0(VALU_DEP_1) | instskip(NEXT) | instid1(VALU_DEP_1)
	v_mad_co_u64_u32 v[4:5], null, s7, v56, v[1:2]
	v_mad_co_u64_u32 v[5:6], null, s5, v74, v[3:4]
	v_mov_b32_e32 v1, v4
	s_mul_u64 s[4:5], s[4:5], 0x188
	s_delay_alu instid0(VALU_DEP_1) | instskip(NEXT) | instid1(VALU_DEP_3)
	v_lshlrev_b64_e32 v[0:1], 3, v[0:1]
	v_mov_b32_e32 v3, v5
	s_delay_alu instid0(VALU_DEP_2) | instskip(NEXT) | instid1(VALU_DEP_2)
	v_add_co_u32 v10, s2, s10, v0
	v_lshlrev_b64_e32 v[2:3], 3, v[2:3]
	s_delay_alu instid0(VALU_DEP_4)
	v_add_co_ci_u32_e64 v11, s2, s11, v1, s2
	s_clause 0xb
	global_load_b64 v[0:1], v73, s[8:9]
	global_load_b64 v[4:5], v73, s[8:9] offset:392
	global_load_b64 v[6:7], v73, s[8:9] offset:784
	;; [unrolled: 1-line block ×11, first 2 shown]
	v_add_co_u32 v2, s2, v10, v2
	s_wait_alu 0xf1ff
	v_add_co_ci_u32_e64 v3, s2, v11, v3, s2
	s_clause 0x2
	global_load_b64 v[32:33], v73, s[8:9] offset:4704
	global_load_b64 v[34:35], v73, s[8:9] offset:5096
	;; [unrolled: 1-line block ×3, first 2 shown]
	s_wait_alu 0xfffe
	v_add_co_u32 v10, s2, v2, s4
	s_wait_alu 0xf1ff
	v_add_co_ci_u32_e64 v11, s2, s5, v3, s2
	s_delay_alu instid0(VALU_DEP_2) | instskip(SKIP_1) | instid1(VALU_DEP_2)
	v_add_co_u32 v20, s2, v10, s4
	s_wait_alu 0xf1ff
	v_add_co_ci_u32_e64 v21, s2, s5, v11, s2
	s_delay_alu instid0(VALU_DEP_2) | instskip(SKIP_1) | instid1(VALU_DEP_2)
	;; [unrolled: 4-line block ×3, first 2 shown]
	v_add_co_u32 v38, s2, v30, s4
	s_wait_alu 0xf1ff
	v_add_co_ci_u32_e64 v39, s2, s5, v31, s2
	s_clause 0x3
	global_load_b64 v[2:3], v[2:3], off
	global_load_b64 v[10:11], v[10:11], off
	;; [unrolled: 1-line block ×4, first 2 shown]
	v_add_co_u32 v40, s2, v38, s4
	s_wait_alu 0xf1ff
	v_add_co_ci_u32_e64 v41, s2, s5, v39, s2
	global_load_b64 v[38:39], v[38:39], off
	v_add_co_u32 v42, s2, v40, s4
	s_wait_alu 0xf1ff
	v_add_co_ci_u32_e64 v43, s2, s5, v41, s2
	global_load_b64 v[40:41], v[40:41], off
	;; [unrolled: 4-line block ×11, first 2 shown]
	v_add_co_u32 v63, s2, v61, s4
	s_wait_alu 0xf1ff
	v_add_co_ci_u32_e64 v64, s2, s5, v62, s2
	global_load_b64 v[65:66], v73, s[8:9] offset:5880
	global_load_b64 v[61:62], v[61:62], off
	global_load_b64 v[67:68], v73, s[8:9] offset:6272
	global_load_b64 v[63:64], v[63:64], off
	v_add_nc_u32_e32 v71, 0x800, v73
	v_add_nc_u32_e32 v75, 0x1000, v73
	s_wait_loadcnt 0x12
	v_mul_f32_e32 v69, v3, v1
	v_mul_f32_e32 v70, v2, v1
	s_wait_loadcnt 0x11
	v_mul_f32_e32 v1, v11, v5
	s_delay_alu instid0(VALU_DEP_3) | instskip(NEXT) | instid1(VALU_DEP_3)
	v_fmac_f32_e32 v69, v2, v0
	v_fma_f32 v70, v3, v0, -v70
	s_wait_loadcnt 0x10
	v_dual_mul_f32 v0, v10, v5 :: v_dual_mul_f32 v3, v21, v7
	v_mul_f32_e32 v7, v20, v7
	s_wait_loadcnt 0xf
	v_mul_f32_e32 v5, v31, v9
	v_mul_f32_e32 v9, v30, v9
	v_fmac_f32_e32 v1, v10, v4
	v_fma_f32 v2, v11, v4, -v0
	v_fmac_f32_e32 v3, v20, v6
	v_fma_f32 v4, v21, v6, -v7
	;; [unrolled: 2-line block ×3, first 2 shown]
	s_wait_loadcnt 0xe
	v_mul_f32_e32 v7, v38, v13
	v_mul_f32_e32 v0, v39, v13
	ds_store_2addr_b64 v73, v[69:70], v[1:2] offset1:49
	s_wait_loadcnt 0xd
	v_mul_f32_e32 v2, v41, v15
	ds_store_2addr_b64 v73, v[3:4], v[5:6] offset0:98 offset1:147
	v_fma_f32 v1, v39, v12, -v7
	s_wait_loadcnt 0xc
	v_mul_f32_e32 v4, v43, v17
	s_wait_loadcnt 0xb
	v_dual_mul_f32 v5, v42, v17 :: v_dual_mul_f32 v6, v45, v19
	v_mul_f32_e32 v7, v44, v19
	s_wait_loadcnt 0xa
	v_mul_f32_e32 v8, v47, v23
	v_dual_mul_f32 v3, v40, v15 :: v_dual_fmac_f32 v0, v38, v12
	v_fmac_f32_e32 v2, v40, v14
	v_fmac_f32_e32 v4, v42, v16
	s_delay_alu instid0(VALU_DEP_4) | instskip(NEXT) | instid1(VALU_DEP_4)
	v_fmac_f32_e32 v8, v46, v22
	v_fma_f32 v3, v41, v14, -v3
	v_fma_f32 v5, v43, v16, -v5
	v_fmac_f32_e32 v6, v44, v18
	v_fma_f32 v7, v45, v18, -v7
	v_mul_f32_e32 v9, v46, v23
	ds_store_2addr_b64 v73, v[0:1], v[2:3] offset0:196 offset1:245
	s_wait_loadcnt 0x8
	v_dual_mul_f32 v3, v50, v27 :: v_dual_mul_f32 v0, v49, v25
	v_dual_mul_f32 v2, v51, v27 :: v_dual_mul_f32 v1, v48, v25
	ds_store_2addr_b64 v71, v[4:5], v[6:7] offset0:38 offset1:87
	s_wait_loadcnt 0x7
	v_mul_f32_e32 v4, v53, v29
	v_mul_f32_e32 v5, v52, v29
	v_fmac_f32_e32 v0, v48, v24
	s_wait_loadcnt 0x6
	v_mul_f32_e32 v6, v55, v33
	v_fma_f32 v9, v47, v22, -v9
	v_fmac_f32_e32 v2, v50, v26
	v_fma_f32 v1, v49, v24, -v1
	v_fmac_f32_e32 v4, v52, v28
	s_wait_loadcnt 0x5
	v_mul_f32_e32 v10, v58, v35
	v_mul_f32_e32 v7, v54, v33
	v_dual_mul_f32 v11, v57, v35 :: v_dual_fmac_f32 v6, v54, v32
	v_fma_f32 v5, v53, v28, -v5
	s_wait_loadcnt 0x4
	v_mul_f32_e32 v12, v60, v37
	v_mul_f32_e32 v13, v59, v37
	v_fma_f32 v3, v51, v26, -v3
	s_wait_loadcnt 0x2
	v_mul_f32_e32 v14, v62, v66
	v_dual_mul_f32 v15, v61, v66 :: v_dual_fmac_f32 v12, v59, v36
	s_wait_loadcnt 0x0
	v_mul_f32_e32 v16, v64, v68
	s_delay_alu instid0(VALU_DEP_3)
	v_dual_mul_f32 v17, v63, v68 :: v_dual_fmac_f32 v14, v61, v65
	v_fmac_f32_e32 v10, v57, v34
	v_fma_f32 v7, v55, v32, -v7
	v_fma_f32 v11, v58, v34, -v11
	;; [unrolled: 1-line block ×4, first 2 shown]
	v_fmac_f32_e32 v16, v63, v67
	v_fma_f32 v17, v64, v67, -v17
	ds_store_2addr_b64 v71, v[8:9], v[0:1] offset0:136 offset1:185
	ds_store_2addr_b64 v72, v[2:3], v[4:5] offset0:106 offset1:155
	;; [unrolled: 1-line block ×4, first 2 shown]
	ds_store_b64 v73, v[16:17] offset:6272
.LBB0_3:
	s_or_b32 exec_lo, exec_lo, s3
	s_clause 0x1
	s_load_b64 s[2:3], s[0:1], 0x20
	s_load_b64 s[4:5], s[0:1], 0x8
	v_mov_b32_e32 v16, 0
	v_mov_b32_e32 v17, 0
	global_wb scope:SCOPE_SE
	s_wait_dscnt 0x0
	s_wait_kmcnt 0x0
	s_barrier_signal -1
	s_barrier_wait -1
	global_inv scope:SCOPE_SE
                                        ; implicit-def: $vgpr38
                                        ; implicit-def: $vgpr32
                                        ; implicit-def: $vgpr20
                                        ; implicit-def: $vgpr24
                                        ; implicit-def: $vgpr12
                                        ; implicit-def: $vgpr42
                                        ; implicit-def: $vgpr50
                                        ; implicit-def: $vgpr46
	s_and_saveexec_b32 s0, vcc_lo
	s_cbranch_execz .LBB0_5
; %bb.4:
	v_add_nc_u32_e32 v0, 0x800, v73
	v_add_nc_u32_e32 v1, 0xc00, v73
	;; [unrolled: 1-line block ×3, first 2 shown]
	ds_load_2addr_b64 v[16:19], v73 offset1:49
	ds_load_2addr_b64 v[44:47], v73 offset0:98 offset1:147
	ds_load_2addr_b64 v[48:51], v73 offset0:196 offset1:245
	;; [unrolled: 1-line block ×7, first 2 shown]
	ds_load_b64 v[12:13], v73 offset:6272
.LBB0_5:
	s_wait_alu 0xfffe
	s_or_b32 exec_lo, exec_lo, s0
	s_wait_dscnt 0x0
	v_dual_sub_f32 v9, v19, v13 :: v_dual_sub_f32 v8, v18, v12
	v_dual_add_f32 v76, v12, v18 :: v_dual_add_f32 v77, v13, v19
	v_dual_add_f32 v78, v26, v44 :: v_dual_sub_f32 v29, v45, v27
	s_delay_alu instid0(VALU_DEP_3) | instskip(SKIP_1) | instid1(VALU_DEP_3)
	v_dual_mul_f32 v52, 0xbeb8f4ab, v9 :: v_dual_mul_f32 v53, 0xbeb8f4ab, v8
	v_dual_sub_f32 v28, v44, v26 :: v_dual_add_f32 v79, v27, v45
	v_mul_f32_e32 v54, 0xbf2c7751, v29
	v_dual_mul_f32 v64, 0xbf2c7751, v8 :: v_dual_sub_f32 v31, v47, v25
	s_delay_alu instid0(VALU_DEP_4) | instskip(SKIP_3) | instid1(VALU_DEP_3)
	v_fma_f32 v1, 0x3f6eb680, v77, -v53
	v_fmamk_f32 v0, v76, 0x3f6eb680, v52
	v_mul_f32_e32 v55, 0xbf2c7751, v28
	v_dual_fmamk_f32 v2, v78, 0x3f3d2fb0, v54 :: v_dual_add_f32 v87, v25, v47
	v_dual_add_f32 v1, v1, v17 :: v_dual_add_f32 v0, v0, v16
	v_dual_mul_f32 v61, 0xbf2c7751, v9 :: v_dual_sub_f32 v30, v46, v24
	v_mul_f32_e32 v59, 0xbf65296c, v31
	v_fma_f32 v3, 0x3f3d2fb0, v79, -v55
	s_delay_alu instid0(VALU_DEP_4) | instskip(NEXT) | instid1(VALU_DEP_4)
	v_dual_add_f32 v0, v2, v0 :: v_dual_sub_f32 v75, v48, v22
	v_dual_mul_f32 v60, 0xbf65296c, v30 :: v_dual_add_f32 v83, v22, v48
	s_delay_alu instid0(VALU_DEP_3) | instskip(SKIP_1) | instid1(VALU_DEP_3)
	v_dual_add_f32 v86, v24, v46 :: v_dual_add_f32 v1, v3, v1
	v_dual_sub_f32 v122, v49, v23 :: v_dual_add_f32 v97, v20, v50
	v_fma_f32 v3, 0x3ee437d1, v87, -v60
	v_dual_add_f32 v84, v23, v49 :: v_dual_mul_f32 v63, 0xbf7ee86f, v75
	v_dual_sub_f32 v128, v51, v21 :: v_dual_sub_f32 v141, v40, v34
	v_dual_sub_f32 v126, v50, v20 :: v_dual_add_f32 v101, v35, v41
	s_delay_alu instid0(VALU_DEP_4) | instskip(SKIP_2) | instid1(VALU_DEP_4)
	v_dual_fmamk_f32 v2, v86, 0x3ee437d1, v59 :: v_dual_add_f32 v1, v3, v1
	v_dual_mul_f32 v62, 0xbf7ee86f, v122 :: v_dual_add_f32 v99, v21, v51
	v_fma_f32 v3, 0x3dbcf732, v84, -v63
	v_dual_mul_f32 v65, 0xbf763a35, v128 :: v_dual_mul_f32 v66, 0xbf763a35, v126
	s_delay_alu instid0(VALU_DEP_4) | instskip(NEXT) | instid1(VALU_DEP_4)
	v_add_f32_e32 v0, v2, v0
	v_dual_fmamk_f32 v2, v83, 0x3dbcf732, v62 :: v_dual_add_f32 v103, v33, v43
	s_delay_alu instid0(VALU_DEP_4)
	v_dual_add_f32 v1, v3, v1 :: v_dual_sub_f32 v142, v41, v35
	v_sub_f32_e32 v143, v43, v33
	v_fma_f32 v3, 0xbe8c1d8e, v99, -v66
	v_dual_mul_f32 v68, 0xbf4c4adb, v141 :: v_dual_sub_f32 v145, v36, v38
	v_dual_sub_f32 v146, v37, v39 :: v_dual_mul_f32 v95, 0xbf7ee86f, v28
	v_sub_f32_e32 v144, v42, v32
	v_dual_add_f32 v0, v2, v0 :: v_dual_mul_f32 v67, 0xbf4c4adb, v142
	v_dual_fmamk_f32 v2, v97, 0xbe8c1d8e, v65 :: v_dual_add_f32 v1, v3, v1
	v_dual_add_f32 v100, v34, v40 :: v_dual_mul_f32 v69, 0xbf06c442, v143
	v_fma_f32 v3, 0xbf1a4643, v101, -v68
	v_mul_f32_e32 v71, 0xbe3c28d5, v146
	v_mul_f32_e32 v70, 0xbf06c442, v144
	v_add_f32_e32 v0, v2, v0
	v_dual_fmamk_f32 v2, v100, 0xbf1a4643, v67 :: v_dual_add_f32 v111, v38, v36
	v_add_f32_e32 v1, v3, v1
	s_delay_alu instid0(VALU_DEP_4) | instskip(SKIP_1) | instid1(VALU_DEP_4)
	v_fma_f32 v3, 0xbf59a7d5, v103, -v70
	v_add_f32_e32 v102, v32, v42
	v_dual_add_f32 v0, v2, v0 :: v_dual_mul_f32 v89, 0xbf7ee86f, v29
	v_mul_f32_e32 v106, 0xbf4c4adb, v29
	s_delay_alu instid0(VALU_DEP_3) | instskip(SKIP_2) | instid1(VALU_DEP_4)
	v_dual_add_f32 v1, v3, v1 :: v_dual_fmamk_f32 v2, v102, 0xbf59a7d5, v69
	v_fma_f32 v5, 0x3f3d2fb0, v77, -v64
	v_mul_f32_e32 v93, 0xbf4c4adb, v30
	v_fmamk_f32 v6, v78, 0xbf1a4643, v106
	v_mul_f32_e32 v94, 0xbe3c28d5, v75
	v_add_f32_e32 v0, v2, v0
	v_fmamk_f32 v2, v111, 0xbf7ba420, v71
	v_dual_add_f32 v112, v39, v37 :: v_dual_mul_f32 v85, 0x3f65296c, v144
	v_mul_f32_e32 v96, 0x3f06c442, v126
	v_mul_f32_e32 v117, 0xbf65296c, v8
	s_delay_alu instid0(VALU_DEP_4) | instskip(SKIP_3) | instid1(VALU_DEP_3)
	v_dual_add_f32 v57, v2, v0 :: v_dual_add_f32 v2, v5, v17
	v_fma_f32 v5, 0x3dbcf732, v79, -v95
	v_dual_mul_f32 v72, 0xbe3c28d5, v145 :: v_dual_mul_f32 v91, 0xbe3c28d5, v122
	v_dual_mul_f32 v98, 0x3f763a35, v141 :: v_dual_mul_f32 v123, 0x3f763a35, v31
	v_add_f32_e32 v2, v5, v2
	v_fma_f32 v5, 0xbf1a4643, v87, -v93
	v_mul_f32_e32 v110, 0x3f763a35, v122
	v_fma_f32 v3, 0xbf7ba420, v112, -v72
	v_dual_mul_f32 v104, 0xbf65296c, v9 :: v_dual_mul_f32 v127, 0xbf65296c, v128
	s_delay_alu instid0(VALU_DEP_4) | instskip(SKIP_1) | instid1(VALU_DEP_4)
	v_add_f32_e32 v2, v5, v2
	v_fma_f32 v5, 0xbf7ba420, v84, -v94
	v_dual_add_f32 v58, v3, v1 :: v_dual_mul_f32 v121, 0x3f2c7751, v126
	v_mul_f32_e32 v105, 0x3f2c7751, v128
	v_fmamk_f32 v0, v78, 0x3dbcf732, v89
	s_delay_alu instid0(VALU_DEP_4)
	v_add_f32_e32 v2, v5, v2
	v_fma_f32 v5, 0xbf59a7d5, v99, -v96
	v_mul_f32_e32 v81, 0x3f65296c, v143
	v_mul_f32_e32 v82, 0x3eb8f4ab, v146
	;; [unrolled: 1-line block ×4, first 2 shown]
	v_add_f32_e32 v2, v5, v2
	v_fma_f32 v5, 0xbe8c1d8e, v101, -v98
	v_fmamk_f32 v3, v111, 0x3f6eb680, v82
	v_mul_f32_e32 v113, 0x3e3c28d5, v31
	v_mul_f32_e32 v109, 0xbf06c442, v146
	;; [unrolled: 1-line block ×3, first 2 shown]
	v_add_f32_e32 v1, v5, v2
	v_fma_f32 v2, 0x3ee437d1, v103, -v85
	v_fmamk_f32 v4, v76, 0x3f3d2fb0, v61
	v_fmamk_f32 v7, v111, 0xbf59a7d5, v109
	v_mul_f32_e32 v107, 0xbeb8f4ab, v142
	v_mul_f32_e32 v115, 0xbeb8f4ab, v141
	s_delay_alu instid0(VALU_DEP_4)
	v_dual_add_f32 v1, v2, v1 :: v_dual_add_f32 v4, v4, v16
	v_fmamk_f32 v2, v76, 0x3ee437d1, v104
	v_mul_f32_e32 v90, 0xbf4c4adb, v31
	v_mul_f32_e32 v149, 0x3f06c442, v29
	;; [unrolled: 1-line block ×3, first 2 shown]
	v_add_f32_e32 v0, v0, v4
	v_add_f32_e32 v5, v2, v16
	v_fmamk_f32 v4, v86, 0xbf1a4643, v90
	v_fmamk_f32 v14, v78, 0xbf59a7d5, v149
	v_mul_f32_e32 v118, 0xbf4c4adb, v28
	v_dual_mul_f32 v108, 0xbf7ee86f, v143 :: v_dual_mul_f32 v137, 0xbf7ee86f, v8
	s_delay_alu instid0(VALU_DEP_4)
	v_add_f32_e32 v0, v4, v0
	v_fmamk_f32 v4, v83, 0xbf7ba420, v91
	v_mul_f32_e32 v120, 0x3f763a35, v75
	v_mul_f32_e32 v124, 0x3eb8f4ab, v122
	v_mul_f32_e32 v88, 0x3eb8f4ab, v145
	v_mul_f32_e32 v116, 0xbf7ee86f, v144
	v_add_f32_e32 v0, v4, v0
	v_fmamk_f32 v4, v97, 0xbf59a7d5, v92
	v_mul_f32_e32 v125, 0xbf7ee86f, v9
	v_dual_mul_f32 v130, 0xbe3c28d5, v29 :: v_dual_mul_f32 v153, 0xbe3c28d5, v128
	v_mul_f32_e32 v138, 0xbe3c28d5, v28
	s_delay_alu instid0(VALU_DEP_4) | instskip(SKIP_3) | instid1(VALU_DEP_3)
	v_add_f32_e32 v0, v4, v0
	v_fmamk_f32 v4, v100, 0xbe8c1d8e, v80
	v_mul_f32_e32 v182, 0x3f65296c, v29
	v_dual_mul_f32 v114, 0xbf06c442, v145 :: v_dual_mul_f32 v131, 0xbf06c442, v142
	v_dual_mul_f32 v133, 0xbf65296c, v126 :: v_dual_add_f32 v0, v4, v0
	v_fmamk_f32 v4, v102, 0x3ee437d1, v81
	v_fma_f32 v10, 0xbf7ba420, v79, -v138
	v_mul_f32_e32 v140, 0x3f763a35, v30
	v_fma_f32 v184, 0x3ee437d1, v78, -v182
	v_mul_f32_e32 v154, 0x3f2c7751, v31
	v_add_f32_e32 v0, v4, v0
	v_fma_f32 v4, 0x3f6eb680, v112, -v88
	v_mul_f32_e32 v136, 0x3eb8f4ab, v75
	v_mul_f32_e32 v132, 0x3f2c7751, v146
	;; [unrolled: 1-line block ×3, first 2 shown]
	v_dual_add_f32 v2, v3, v0 :: v_dual_add_f32 v3, v6, v5
	v_fmamk_f32 v5, v86, 0xbf7ba420, v113
	v_fma_f32 v0, 0x3ee437d1, v77, -v117
	v_fma_f32 v6, 0xbf1a4643, v79, -v118
	v_mul_f32_e32 v150, 0x3f7ee86f, v142
	s_delay_alu instid0(VALU_DEP_4) | instskip(NEXT) | instid1(VALU_DEP_4)
	v_dual_mul_f32 v152, 0xbf65296c, v122 :: v_dual_add_f32 v3, v5, v3
	v_dual_fmamk_f32 v5, v83, 0xbe8c1d8e, v110 :: v_dual_add_f32 v0, v0, v17
	v_mul_f32_e32 v129, 0x3f4c4adb, v143
	v_mul_f32_e32 v148, 0xbf763a35, v9
	s_delay_alu instid0(VALU_DEP_3) | instskip(SKIP_4) | instid1(VALU_DEP_4)
	v_dual_mul_f32 v162, 0x3f06c442, v28 :: v_dual_add_f32 v3, v5, v3
	v_fmamk_f32 v5, v97, 0x3f3d2fb0, v105
	v_mul_f32_e32 v174, 0x3f65296c, v145
	v_dual_mul_f32 v158, 0xbe3c28d5, v126 :: v_dual_mul_f32 v177, 0xbe3c28d5, v144
	v_mul_f32_e32 v139, 0x3f2c7751, v145
	v_add_f32_e32 v3, v5, v3
	v_fmamk_f32 v5, v100, 0x3f6eb680, v107
	v_fma_f32 v180, 0x3ee437d1, v112, -v174
	v_mul_f32_e32 v160, 0x3f2c7751, v30
	v_fmac_f32_e32 v182, 0x3ee437d1, v78
	s_delay_alu instid0(VALU_DEP_4)
	v_dual_mul_f32 v156, 0x3f7ee86f, v141 :: v_dual_add_f32 v3, v5, v3
	v_fmamk_f32 v5, v102, 0x3dbcf732, v108
	v_add_f32_e32 v0, v6, v0
	v_fma_f32 v6, 0xbf7ba420, v87, -v119
	v_mul_f32_e32 v135, 0x3f4c4adb, v144
	v_mul_f32_e32 v159, 0xbf65296c, v75
	v_add_f32_e32 v5, v5, v3
	s_delay_alu instid0(VALU_DEP_4)
	v_dual_add_f32 v3, v4, v1 :: v_dual_add_f32 v0, v6, v0
	v_fma_f32 v6, 0xbe8c1d8e, v84, -v120
	v_fma_f32 v4, 0x3dbcf732, v103, -v116
	v_mul_f32_e32 v171, 0xbf4c4adb, v8
	v_mul_f32_e32 v168, 0x3f763a35, v29
	;; [unrolled: 1-line block ×3, first 2 shown]
	v_add_f32_e32 v0, v6, v0
	v_fma_f32 v6, 0x3f3d2fb0, v99, -v121
	v_mul_f32_e32 v172, 0x3f763a35, v28
	v_mul_f32_e32 v173, 0xbeb8f4ab, v30
	v_dual_mul_f32 v176, 0xbf06c442, v75 :: v_dual_mul_f32 v179, 0xbf06c442, v8
	s_delay_alu instid0(VALU_DEP_4)
	v_add_f32_e32 v0, v6, v0
	v_fma_f32 v6, 0x3f6eb680, v101, -v115
	v_fma_f32 v163, 0xbe8c1d8e, v79, -v172
	v_mul_f32_e32 v166, 0x3f7ee86f, v128
	v_mul_f32_e32 v178, 0x3f7ee86f, v126
	;; [unrolled: 1-line block ×3, first 2 shown]
	v_dual_add_f32 v1, v6, v0 :: v_dual_add_f32 v0, v7, v5
	v_fmamk_f32 v7, v78, 0xbf7ba420, v130
	v_fma_f32 v6, 0x3dbcf732, v77, -v137
	v_fma_f32 v5, 0xbf59a7d5, v112, -v114
	s_delay_alu instid0(VALU_DEP_4) | instskip(SKIP_3) | instid1(VALU_DEP_4)
	v_add_f32_e32 v1, v4, v1
	v_fmamk_f32 v4, v76, 0x3dbcf732, v125
	v_mul_f32_e32 v164, 0xbe3c28d5, v143
	v_add_f32_e32 v6, v6, v17
	v_dual_mul_f32 v188, 0x3f4c4adb, v122 :: v_dual_add_f32 v1, v5, v1
	s_delay_alu instid0(VALU_DEP_4) | instskip(SKIP_2) | instid1(VALU_DEP_3)
	v_dual_add_f32 v4, v4, v16 :: v_dual_mul_f32 v151, 0xbeb8f4ab, v143
	v_dual_mul_f32 v190, 0xbeb8f4ab, v128 :: v_dual_mul_f32 v191, 0xbeb8f4ab, v126
	v_mul_f32_e32 v194, 0x3f2c7751, v144
	v_dual_add_f32 v4, v7, v4 :: v_dual_fmamk_f32 v7, v86, 0xbe8c1d8e, v123
	v_mul_f32_e32 v147, 0xbf4c4adb, v146
	v_mul_f32_e32 v122, 0x3f2c7751, v122
	;; [unrolled: 1-line block ×4, first 2 shown]
	v_add_f32_e32 v4, v7, v4
	v_fmamk_f32 v7, v83, 0x3f6eb680, v124
	v_fmamk_f32 v15, v111, 0xbf1a4643, v147
	global_wb scope:SCOPE_SE
	s_barrier_signal -1
	v_dual_mul_f32 v165, 0xbf4c4adb, v9 :: v_dual_add_f32 v4, v7, v4
	v_fmamk_f32 v7, v97, 0x3ee437d1, v127
	s_barrier_wait -1
	global_inv scope:SCOPE_SE
	v_mul_f32_e32 v157, 0xbf4c4adb, v145
	v_dual_mul_f32 v169, 0xbeb8f4ab, v31 :: v_dual_add_f32 v4, v7, v4
	v_dual_fmamk_f32 v7, v100, 0xbf59a7d5, v131 :: v_dual_add_f32 v6, v10, v6
	v_fma_f32 v10, 0xbe8c1d8e, v87, -v140
	v_mul_f32_e32 v175, 0xbf2c7751, v141
	v_mul_f32_e32 v183, 0x3f65296c, v28
	s_delay_alu instid0(VALU_DEP_4) | instskip(NEXT) | instid1(VALU_DEP_4)
	v_dual_add_f32 v4, v7, v4 :: v_dual_fmamk_f32 v7, v102, 0xbf1a4643, v129
	v_add_f32_e32 v6, v10, v6
	v_fma_f32 v10, 0x3f6eb680, v84, -v136
	v_mul_f32_e32 v185, 0xbf7ee86f, v31
	v_fmamk_f32 v186, v79, 0x3ee437d1, v183
	v_add_f32_e32 v4, v7, v4
	s_delay_alu instid0(VALU_DEP_4) | instskip(SKIP_4) | instid1(VALU_DEP_4)
	v_dual_fmamk_f32 v7, v111, 0x3f3d2fb0, v132 :: v_dual_add_f32 v6, v10, v6
	v_fma_f32 v10, 0x3ee437d1, v99, -v133
	v_mul_f32_e32 v189, 0x3f4c4adb, v75
	v_mul_f32_e32 v75, 0x3f2c7751, v75
	;; [unrolled: 1-line block ×3, first 2 shown]
	v_dual_mul_f32 v29, 0x3eb8f4ab, v29 :: v_dual_add_f32 v6, v10, v6
	v_fma_f32 v10, 0xbf59a7d5, v101, -v134
	v_mul_f32_e32 v31, 0xbf06c442, v31
	s_delay_alu instid0(VALU_DEP_2) | instskip(SKIP_2) | instid1(VALU_DEP_2)
	v_add_f32_e32 v5, v10, v6
	v_fma_f32 v6, 0xbf1a4643, v103, -v135
	v_fma_f32 v10, 0x3f3d2fb0, v112, -v139
	v_dual_add_f32 v5, v6, v5 :: v_dual_fmamk_f32 v6, v76, 0xbe8c1d8e, v148
	s_delay_alu instid0(VALU_DEP_1) | instskip(SKIP_2) | instid1(VALU_DEP_3)
	v_add_f32_e32 v11, v6, v16
	v_add_f32_e32 v6, v7, v4
	v_fma_f32 v4, 0xbe8c1d8e, v77, -v161
	v_add_f32_e32 v7, v14, v11
	s_delay_alu instid0(VALU_DEP_2) | instskip(SKIP_1) | instid1(VALU_DEP_2)
	v_dual_fmamk_f32 v11, v86, 0x3f3d2fb0, v154 :: v_dual_add_f32 v4, v4, v17
	v_fma_f32 v14, 0xbf59a7d5, v79, -v162
	v_add_f32_e32 v7, v11, v7
	s_delay_alu instid0(VALU_DEP_2) | instskip(SKIP_1) | instid1(VALU_DEP_2)
	v_dual_fmamk_f32 v11, v83, 0x3ee437d1, v152 :: v_dual_add_f32 v4, v14, v4
	;; [unrolled: 4-line block ×4, first 2 shown]
	v_fma_f32 v14, 0xbf7ba420, v99, -v158
	v_add_f32_e32 v7, v11, v7
	v_fmamk_f32 v11, v102, 0x3f6eb680, v151
	s_delay_alu instid0(VALU_DEP_3) | instskip(SKIP_1) | instid1(VALU_DEP_3)
	v_add_f32_e32 v4, v14, v4
	v_fma_f32 v14, 0x3dbcf732, v101, -v156
	v_add_f32_e32 v11, v11, v7
	v_mul_f32_e32 v155, 0xbeb8f4ab, v144
	v_add_f32_e32 v7, v10, v5
	s_delay_alu instid0(VALU_DEP_4) | instskip(SKIP_4) | instid1(VALU_DEP_4)
	v_add_f32_e32 v5, v14, v4
	v_fma_f32 v14, 0xbf1a4643, v77, -v171
	v_add_f32_e32 v4, v15, v11
	v_fma_f32 v10, 0x3f6eb680, v103, -v155
	v_fma_f32 v11, 0xbf1a4643, v112, -v157
	v_add_f32_e32 v14, v14, v17
	v_fmamk_f32 v15, v78, 0xbe8c1d8e, v168
	s_delay_alu instid0(VALU_DEP_4) | instskip(NEXT) | instid1(VALU_DEP_3)
	v_dual_add_f32 v5, v10, v5 :: v_dual_fmamk_f32 v10, v76, 0xbf1a4643, v165
	v_add_f32_e32 v14, v163, v14
	v_fma_f32 v163, 0x3f6eb680, v87, -v173
	s_delay_alu instid0(VALU_DEP_3) | instskip(NEXT) | instid1(VALU_DEP_2)
	v_dual_add_f32 v5, v11, v5 :: v_dual_add_f32 v10, v10, v16
	v_add_f32_e32 v14, v163, v14
	v_fma_f32 v163, 0xbf59a7d5, v84, -v176
	s_delay_alu instid0(VALU_DEP_3) | instskip(NEXT) | instid1(VALU_DEP_2)
	v_dual_add_f32 v10, v15, v10 :: v_dual_fmamk_f32 v15, v86, 0x3f6eb680, v169
	v_add_f32_e32 v14, v163, v14
	v_fma_f32 v163, 0x3dbcf732, v99, -v178
	s_delay_alu instid0(VALU_DEP_3) | instskip(SKIP_1) | instid1(VALU_DEP_1)
	v_add_f32_e32 v10, v15, v10
	v_fmamk_f32 v15, v83, 0xbf59a7d5, v170
	v_dual_add_f32 v10, v15, v10 :: v_dual_fmamk_f32 v15, v97, 0x3dbcf732, v166
	s_delay_alu instid0(VALU_DEP_1) | instskip(SKIP_2) | instid1(VALU_DEP_3)
	v_dual_add_f32 v10, v15, v10 :: v_dual_fmamk_f32 v15, v100, 0x3f3d2fb0, v167
	v_add_f32_e32 v14, v163, v14
	v_fma_f32 v163, 0x3f3d2fb0, v101, -v175
	v_dual_add_f32 v10, v15, v10 :: v_dual_fmamk_f32 v15, v102, 0xbf7ba420, v164
	s_delay_alu instid0(VALU_DEP_2) | instskip(SKIP_2) | instid1(VALU_DEP_4)
	v_add_f32_e32 v11, v163, v14
	v_fma_f32 v14, 0xbf7ba420, v103, -v177
	v_mul_f32_e32 v163, 0x3f65296c, v146
	v_dual_add_f32 v10, v15, v10 :: v_dual_mul_f32 v15, 0xbf06c442, v9
	s_delay_alu instid0(VALU_DEP_2) | instskip(SKIP_1) | instid1(VALU_DEP_3)
	v_dual_add_f32 v11, v14, v11 :: v_dual_fmamk_f32 v14, v111, 0x3ee437d1, v163
	v_mul_f32_e32 v9, 0xbe3c28d5, v9
	v_fma_f32 v181, 0xbf59a7d5, v76, -v15
	s_delay_alu instid0(VALU_DEP_3) | instskip(NEXT) | instid1(VALU_DEP_4)
	v_dual_fmac_f32 v15, 0xbf59a7d5, v76 :: v_dual_add_f32 v10, v14, v10
	v_dual_fmamk_f32 v14, v77, 0xbf59a7d5, v179 :: v_dual_add_f32 v11, v180, v11
	s_delay_alu instid0(VALU_DEP_3) | instskip(NEXT) | instid1(VALU_DEP_3)
	v_add_f32_e32 v181, v181, v16
	v_add_f32_e32 v15, v15, v16
	v_fmamk_f32 v180, v99, 0x3f6eb680, v191
	s_delay_alu instid0(VALU_DEP_4)
	v_add_f32_e32 v14, v14, v17
	v_fma_f32 v179, 0xbf59a7d5, v77, -v179
	v_add_f32_e32 v181, v184, v181
	v_fma_f32 v184, 0x3dbcf732, v86, -v185
	v_add_f32_e32 v15, v182, v15
	v_fmac_f32_e32 v185, 0x3dbcf732, v86
	v_add_f32_e32 v14, v186, v14
	s_delay_alu instid0(VALU_DEP_4) | instskip(SKIP_1) | instid1(VALU_DEP_4)
	v_dual_fmamk_f32 v182, v103, 0x3f3d2fb0, v194 :: v_dual_add_f32 v181, v184, v181
	v_fma_f32 v184, 0xbf1a4643, v83, -v188
	v_add_f32_e32 v15, v185, v15
	v_fmac_f32_e32 v188, 0xbf1a4643, v83
	v_mul_f32_e32 v187, 0xbf7ee86f, v30
	s_delay_alu instid0(VALU_DEP_4) | instskip(SKIP_2) | instid1(VALU_DEP_2)
	v_add_f32_e32 v181, v184, v181
	v_fma_f32 v184, 0x3f6eb680, v97, -v190
	v_fmac_f32_e32 v190, 0x3f6eb680, v97
	v_dual_fmamk_f32 v186, v87, 0x3dbcf732, v187 :: v_dual_add_f32 v181, v184, v181
	v_mul_f32_e32 v184, 0xbe3c28d5, v142
	s_delay_alu instid0(VALU_DEP_2) | instskip(SKIP_2) | instid1(VALU_DEP_2)
	v_add_f32_e32 v14, v186, v14
	v_fmamk_f32 v186, v84, 0xbf1a4643, v189
	v_mul_f32_e32 v142, 0x3f65296c, v142
	v_add_f32_e32 v14, v186, v14
	v_mul_f32_e32 v186, 0xbe3c28d5, v141
	s_delay_alu instid0(VALU_DEP_2) | instskip(SKIP_1) | instid1(VALU_DEP_3)
	v_dual_mul_f32 v141, 0x3f65296c, v141 :: v_dual_add_f32 v14, v180, v14
	v_fma_f32 v180, 0xbf7ba420, v100, -v184
	v_fmamk_f32 v192, v101, 0xbf7ba420, v186
	v_fmac_f32_e32 v184, 0xbf7ba420, v100
	s_delay_alu instid0(VALU_DEP_3) | instskip(SKIP_1) | instid1(VALU_DEP_4)
	v_add_f32_e32 v180, v180, v181
	v_fma_f32 v181, 0x3f3d2fb0, v102, -v193
	v_add_f32_e32 v14, v192, v14
	s_delay_alu instid0(VALU_DEP_2) | instskip(NEXT) | instid1(VALU_DEP_2)
	v_dual_fmac_f32 v193, 0x3f3d2fb0, v102 :: v_dual_add_f32 v180, v181, v180
	v_add_f32_e32 v181, v182, v14
	v_mul_f32_e32 v182, 0xbf763a35, v146
	v_dual_add_f32 v14, v188, v15 :: v_dual_add_f32 v15, v179, v17
	v_fma_f32 v179, 0x3ee437d1, v79, -v183
	v_mul_f32_e32 v183, 0xbf763a35, v145
	s_delay_alu instid0(VALU_DEP_4) | instskip(NEXT) | instid1(VALU_DEP_4)
	v_fma_f32 v185, 0xbe8c1d8e, v111, -v182
	v_add_f32_e32 v188, v190, v14
	v_fmac_f32_e32 v182, 0xbe8c1d8e, v111
	v_add_f32_e32 v15, v179, v15
	v_fma_f32 v179, 0x3dbcf732, v87, -v187
	v_dual_fmamk_f32 v187, v112, 0xbe8c1d8e, v183 :: v_dual_add_f32 v14, v185, v180
	v_add_f32_e32 v180, v184, v188
	v_fma_f32 v184, 0xbf1a4643, v84, -v189
	s_delay_alu instid0(VALU_DEP_4) | instskip(NEXT) | instid1(VALU_DEP_4)
	v_add_f32_e32 v179, v179, v15
	v_add_f32_e32 v15, v187, v181
	v_fma_f32 v181, 0x3f6eb680, v99, -v191
	v_mul_f32_e32 v185, 0xbe3c28d5, v8
	v_fma_f32 v183, 0xbe8c1d8e, v112, -v183
	v_add_f32_e32 v179, v184, v179
	v_fma_f32 v184, 0xbf7ba420, v76, -v9
	v_fmac_f32_e32 v9, 0xbf7ba420, v76
	s_delay_alu instid0(VALU_DEP_3) | instskip(SKIP_1) | instid1(VALU_DEP_3)
	v_add_f32_e32 v179, v181, v179
	v_fma_f32 v181, 0x3f6eb680, v78, -v29
	v_add_f32_e32 v9, v9, v16
	v_fmac_f32_e32 v29, 0x3f6eb680, v78
	s_delay_alu instid0(VALU_DEP_1) | instskip(SKIP_1) | instid1(VALU_DEP_1)
	v_add_f32_e32 v9, v29, v9
	v_add_f32_e32 v180, v193, v180
	;; [unrolled: 1-line block ×4, first 2 shown]
	v_fma_f32 v184, 0xbf7ba420, v101, -v186
	v_fma_f32 v186, 0xbf59a7d5, v86, -v31
	v_fmac_f32_e32 v31, 0xbf59a7d5, v86
	s_delay_alu instid0(VALU_DEP_3) | instskip(SKIP_1) | instid1(VALU_DEP_3)
	v_add_f32_e32 v179, v184, v179
	v_fma_f32 v184, 0x3f3d2fb0, v83, -v122
	v_dual_add_f32 v9, v31, v9 :: v_dual_fmac_f32 v122, 0x3f3d2fb0, v83
	s_delay_alu instid0(VALU_DEP_1) | instskip(SKIP_1) | instid1(VALU_DEP_2)
	v_dual_add_f32 v9, v122, v9 :: v_dual_add_f32 v180, v181, v180
	v_mul_f32_e32 v122, 0x3f7ee86f, v146
	v_add_f32_e32 v180, v186, v180
	v_fma_f32 v186, 0x3f3d2fb0, v103, -v194
	s_delay_alu instid0(VALU_DEP_2) | instskip(SKIP_2) | instid1(VALU_DEP_4)
	v_add_f32_e32 v180, v184, v180
	v_fma_f32 v184, 0xbf1a4643, v97, -v128
	v_fmac_f32_e32 v128, 0xbf1a4643, v97
	v_dual_mul_f32 v28, 0x3eb8f4ab, v28 :: v_dual_add_f32 v179, v186, v179
	v_mul_f32_e32 v30, 0xbf06c442, v30
	s_delay_alu instid0(VALU_DEP_4) | instskip(SKIP_2) | instid1(VALU_DEP_4)
	v_add_f32_e32 v180, v184, v180
	v_fma_f32 v184, 0x3ee437d1, v100, -v142
	v_dual_add_f32 v9, v128, v9 :: v_dual_fmac_f32 v142, 0x3ee437d1, v100
	v_fma_f32 v29, 0xbf59a7d5, v87, -v30
	v_fma_f32 v128, 0x3dbcf732, v111, -v122
	s_delay_alu instid0(VALU_DEP_4) | instskip(NEXT) | instid1(VALU_DEP_4)
	v_add_f32_e32 v180, v184, v180
	v_dual_fmamk_f32 v182, v77, 0xbf7ba420, v185 :: v_dual_add_f32 v9, v142, v9
	s_delay_alu instid0(VALU_DEP_1) | instskip(SKIP_2) | instid1(VALU_DEP_2)
	v_dual_fmac_f32 v122, 0x3dbcf732, v111 :: v_dual_add_f32 v181, v182, v17
	v_fmamk_f32 v182, v79, 0x3f6eb680, v28
	v_fma_f32 v28, 0x3f6eb680, v79, -v28
	v_dual_add_f32 v181, v182, v181 :: v_dual_fmamk_f32 v182, v87, 0xbf59a7d5, v30
	v_dual_mul_f32 v30, 0xbf763a35, v143 :: v_dual_mul_f32 v143, 0xbf763a35, v144
	s_delay_alu instid0(VALU_DEP_2) | instskip(NEXT) | instid1(VALU_DEP_2)
	v_dual_add_f32 v181, v182, v181 :: v_dual_fmamk_f32 v182, v84, 0x3f3d2fb0, v75
	v_fma_f32 v31, 0xbe8c1d8e, v102, -v30
	s_delay_alu instid0(VALU_DEP_2) | instskip(SKIP_1) | instid1(VALU_DEP_2)
	v_dual_fmac_f32 v30, 0xbe8c1d8e, v102 :: v_dual_add_f32 v181, v182, v181
	v_fmamk_f32 v182, v99, 0xbf1a4643, v126
	v_dual_add_f32 v31, v31, v180 :: v_dual_add_f32 v30, v30, v9
	v_add_f32_e32 v9, v183, v179
	s_delay_alu instid0(VALU_DEP_3) | instskip(SKIP_1) | instid1(VALU_DEP_4)
	v_add_f32_e32 v181, v182, v181
	v_fma_f32 v182, 0xbf7ba420, v77, -v185
	v_dual_fmamk_f32 v185, v101, 0x3ee437d1, v141 :: v_dual_add_f32 v30, v122, v30
	s_delay_alu instid0(VALU_DEP_2) | instskip(NEXT) | instid1(VALU_DEP_1)
	v_add_f32_e32 v182, v182, v17
	v_dual_add_f32 v181, v185, v181 :: v_dual_add_f32 v28, v28, v182
	s_delay_alu instid0(VALU_DEP_1) | instskip(SKIP_1) | instid1(VALU_DEP_1)
	v_add_f32_e32 v28, v29, v28
	v_fma_f32 v29, 0x3f3d2fb0, v84, -v75
	v_dual_fmamk_f32 v75, v103, 0xbe8c1d8e, v143 :: v_dual_add_f32 v28, v29, v28
	v_fma_f32 v29, 0xbf1a4643, v99, -v126
	v_mul_f32_e32 v126, 0x3f7ee86f, v145
	s_delay_alu instid0(VALU_DEP_2) | instskip(SKIP_1) | instid1(VALU_DEP_3)
	v_dual_add_f32 v75, v75, v181 :: v_dual_add_f32 v28, v29, v28
	v_fma_f32 v29, 0x3ee437d1, v101, -v141
	v_fmamk_f32 v141, v112, 0x3dbcf732, v126
	v_fma_f32 v126, 0x3dbcf732, v112, -v126
	s_delay_alu instid0(VALU_DEP_3) | instskip(SKIP_1) | instid1(VALU_DEP_1)
	v_add_f32_e32 v28, v29, v28
	v_fma_f32 v29, 0xbe8c1d8e, v103, -v143
	v_add_f32_e32 v142, v29, v28
	v_add_f32_e32 v28, v128, v31
	;; [unrolled: 1-line block ×3, first 2 shown]
	v_mul_lo_u16 v75, v74, 17
	s_delay_alu instid0(VALU_DEP_4)
	v_add_f32_e32 v31, v126, v142
	s_and_saveexec_b32 s0, vcc_lo
	s_cbranch_execz .LBB0_7
; %bb.6:
	v_mul_f32_e32 v122, 0x3f6eb680, v76
	v_dual_mul_f32 v126, 0x3f6eb680, v77 :: v_dual_mul_f32 v205, 0x3f6eb680, v83
	v_dual_mul_f32 v128, 0x3f3d2fb0, v76 :: v_dual_mul_f32 v141, 0x3f3d2fb0, v77
	;; [unrolled: 1-line block ×17, first 2 shown]
	v_dual_mul_f32 v86, 0x3f6eb680, v86 :: v_dual_add_f32 v77, v171, v77
	v_dual_mul_f32 v87, 0x3f6eb680, v87 :: v_dual_mul_f32 v206, 0x3f6eb680, v84
	v_add_f32_e32 v79, v172, v79
	v_dual_mul_f32 v200, 0x3dbcf732, v83 :: v_dual_mul_f32 v201, 0x3dbcf732, v84
	s_delay_alu instid0(VALU_DEP_4)
	v_dual_add_f32 v77, v77, v17 :: v_dual_mul_f32 v202, 0xbf7ba420, v83
	v_mul_f32_e32 v203, 0xbf7ba420, v84
	v_dual_mul_f32 v204, 0xbe8c1d8e, v83 :: v_dual_mul_f32 v171, 0xbe8c1d8e, v84
	v_dual_mul_f32 v207, 0x3ee437d1, v83 :: v_dual_mul_f32 v172, 0x3ee437d1, v84
	v_mul_f32_e32 v84, 0xbf59a7d5, v84
	v_mul_f32_e32 v208, 0xbe8c1d8e, v97
	v_add_f32_e32 v77, v79, v77
	v_add_f32_e32 v79, v173, v87
	v_dual_mul_f32 v83, 0xbf59a7d5, v83 :: v_dual_sub_f32 v76, v76, v165
	v_mul_f32_e32 v210, 0x3f3d2fb0, v97
	v_dual_mul_f32 v87, 0xbe8c1d8e, v99 :: v_dual_sub_f32 v78, v78, v168
	s_delay_alu instid0(VALU_DEP_4) | instskip(SKIP_3) | instid1(VALU_DEP_3)
	v_add_f32_e32 v77, v79, v77
	v_dual_add_f32 v79, v176, v84 :: v_dual_mul_f32 v176, 0x3f3d2fb0, v99
	v_mul_f32_e32 v84, 0x3dbcf732, v99
	v_dual_mul_f32 v173, 0xbf59a7d5, v97 :: v_dual_add_f32 v76, v76, v16
	v_dual_add_f32 v77, v79, v77 :: v_dual_mul_f32 v168, 0xbe8c1d8e, v100
	s_delay_alu instid0(VALU_DEP_3) | instskip(SKIP_1) | instid1(VALU_DEP_4)
	v_dual_add_f32 v79, v178, v84 :: v_dual_mul_f32 v84, 0xbf7ba420, v97
	v_mul_f32_e32 v178, 0x3f3d2fb0, v101
	v_dual_mul_f32 v209, 0xbf59a7d5, v99 :: v_dual_add_f32 v76, v78, v76
	v_dual_mul_f32 v211, 0x3ee437d1, v97 :: v_dual_mul_f32 v212, 0x3ee437d1, v99
	v_dual_mul_f32 v99, 0xbf7ba420, v99 :: v_dual_sub_f32 v78, v86, v169
	v_add_f32_e32 v77, v79, v77
	v_dual_add_f32 v79, v175, v178 :: v_dual_mul_f32 v178, 0xbe8c1d8e, v101
	v_dual_mul_f32 v175, 0xbf7ba420, v103 :: v_dual_add_f32 v162, v162, v189
	s_delay_alu instid0(VALU_DEP_4) | instskip(NEXT) | instid1(VALU_DEP_3)
	v_dual_mul_f32 v97, 0x3dbcf732, v97 :: v_dual_add_f32 v76, v78, v76
	v_dual_mul_f32 v78, 0x3ee437d1, v112 :: v_dual_add_f32 v77, v79, v77
	s_delay_alu instid0(VALU_DEP_3) | instskip(NEXT) | instid1(VALU_DEP_3)
	v_add_f32_e32 v79, v177, v175
	v_dual_sub_f32 v97, v97, v166 :: v_dual_mul_f32 v166, 0x3ee437d1, v103
	s_delay_alu instid0(VALU_DEP_3) | instskip(NEXT) | instid1(VALU_DEP_3)
	v_dual_mul_f32 v213, 0xbf1a4643, v100 :: v_dual_add_f32 v78, v174, v78
	v_dual_add_f32 v77, v79, v77 :: v_dual_mul_f32 v174, 0xbf59a7d5, v103
	v_sub_f32_e32 v79, v83, v170
	v_mul_f32_e32 v165, 0xbf1a4643, v101
	v_dual_mul_f32 v175, 0x3f6eb680, v100 :: v_dual_mul_f32 v86, 0x3f6eb680, v101
	v_dual_mul_f32 v169, 0xbf59a7d5, v100 :: v_dual_mul_f32 v170, 0xbf59a7d5, v102
	s_delay_alu instid0(VALU_DEP_4)
	v_dual_add_f32 v76, v79, v76 :: v_dual_add_f32 v79, v161, v179
	v_mul_f32_e32 v177, 0xbf59a7d5, v101
	v_mul_f32_e32 v83, 0x3dbcf732, v100
	v_dual_mul_f32 v101, 0x3dbcf732, v101 :: v_dual_sub_f32 v146, v146, v148
	v_mul_f32_e32 v100, 0x3f3d2fb0, v100
	v_dual_mul_f32 v148, 0x3f6eb680, v102 :: v_dual_add_f32 v79, v79, v17
	v_dual_mul_f32 v161, 0x3ee437d1, v102 :: v_dual_add_f32 v160, v160, v199
	s_delay_alu instid0(VALU_DEP_4) | instskip(NEXT) | instid1(VALU_DEP_4)
	v_dual_mul_f32 v179, 0x3dbcf732, v102 :: v_dual_add_f32 v146, v146, v16
	v_dual_sub_f32 v100, v100, v167 :: v_dual_mul_f32 v167, 0xbf1a4643, v102
	s_delay_alu instid0(VALU_DEP_4) | instskip(SKIP_3) | instid1(VALU_DEP_4)
	v_dual_mul_f32 v102, 0xbf7ba420, v102 :: v_dual_add_f32 v79, v162, v79
	v_dual_sub_f32 v149, v188, v149 :: v_dual_mul_f32 v162, 0xbf1a4643, v103
	v_dual_add_f32 v76, v97, v76 :: v_dual_mul_f32 v189, 0xbf7ba420, v111
	v_sub_f32_e32 v154, v198, v154
	v_dual_mul_f32 v188, 0xbf7ba420, v112 :: v_dual_add_f32 v79, v160, v79
	v_mul_f32_e32 v198, 0xbf59a7d5, v112
	v_mul_f32_e32 v160, 0x3f6eb680, v111
	v_dual_mul_f32 v97, 0x3dbcf732, v103 :: v_dual_add_f32 v146, v149, v146
	v_add_f32_e32 v159, v159, v172
	v_mul_f32_e32 v149, 0xbf59a7d5, v111
	v_dual_add_f32 v99, v158, v99 :: v_dual_add_f32 v76, v100, v76
	s_delay_alu instid0(VALU_DEP_3)
	v_dual_add_f32 v146, v154, v146 :: v_dual_add_f32 v79, v159, v79
	v_dual_mul_f32 v158, 0x3f3d2fb0, v112 :: v_dual_mul_f32 v159, 0x3f3d2fb0, v111
	v_mul_f32_e32 v154, 0xbf1a4643, v111
	v_dual_mul_f32 v111, 0x3ee437d1, v111 :: v_dual_sub_f32 v100, v102, v164
	v_dual_add_f32 v77, v78, v77 :: v_dual_sub_f32 v78, v207, v152
	v_dual_mul_f32 v103, 0x3f6eb680, v103 :: v_dual_mul_f32 v172, 0x3f6eb680, v112
	v_dual_mul_f32 v112, 0xbf1a4643, v112 :: v_dual_add_f32 v79, v99, v79
	s_delay_alu instid0(VALU_DEP_3) | instskip(SKIP_4) | instid1(VALU_DEP_4)
	v_dual_add_f32 v78, v78, v146 :: v_dual_add_f32 v99, v156, v101
	v_sub_f32_e32 v84, v84, v153
	v_add_f32_e32 v76, v100, v76
	v_dual_add_f32 v100, v137, v145 :: v_dual_sub_f32 v83, v83, v150
	v_sub_f32_e32 v102, v144, v125
	v_dual_add_f32 v78, v84, v78 :: v_dual_sub_f32 v101, v111, v163
	s_delay_alu instid0(VALU_DEP_3) | instskip(SKIP_4) | instid1(VALU_DEP_4)
	v_add_f32_e32 v84, v100, v17
	v_add_f32_e32 v100, v138, v187
	v_add_f32_e32 v79, v99, v79
	v_add_f32_e32 v99, v155, v103
	v_add_f32_e32 v103, v117, v143
	v_dual_add_f32 v111, v118, v185 :: v_dual_add_f32 v84, v100, v84
	s_delay_alu instid0(VALU_DEP_3) | instskip(SKIP_4) | instid1(VALU_DEP_4)
	v_dual_sub_f32 v104, v142, v104 :: v_dual_add_f32 v79, v99, v79
	v_dual_add_f32 v99, v157, v112 :: v_dual_add_f32 v78, v83, v78
	v_sub_f32_e32 v83, v148, v151
	v_add_f32_e32 v100, v140, v197
	v_add_f32_e32 v103, v103, v17
	;; [unrolled: 1-line block ×3, first 2 shown]
	s_delay_alu instid0(VALU_DEP_4) | instskip(NEXT) | instid1(VALU_DEP_4)
	v_dual_add_f32 v99, v102, v16 :: v_dual_add_f32 v78, v83, v78
	v_add_f32_e32 v83, v100, v84
	v_add_f32_e32 v84, v136, v206
	v_sub_f32_e32 v100, v186, v130
	v_sub_f32_e32 v102, v154, v147
	v_add_f32_e32 v103, v111, v103
	v_add_f32_e32 v111, v119, v195
	v_dual_add_f32 v83, v84, v83 :: v_dual_add_f32 v84, v133, v212
	v_add_f32_e32 v99, v100, v99
	v_sub_f32_e32 v100, v196, v123
	v_add_f32_e32 v78, v102, v78
	s_delay_alu instid0(VALU_DEP_4) | instskip(NEXT) | instid1(VALU_DEP_3)
	v_dual_add_f32 v102, v121, v176 :: v_dual_add_f32 v83, v84, v83
	v_dual_add_f32 v84, v134, v177 :: v_dual_add_f32 v99, v100, v99
	v_dual_sub_f32 v100, v205, v124 :: v_dual_add_f32 v103, v111, v103
	v_add_f32_e32 v97, v116, v97
	s_delay_alu instid0(VALU_DEP_3) | instskip(NEXT) | instid1(VALU_DEP_3)
	v_dual_add_f32 v83, v84, v83 :: v_dual_add_f32 v84, v135, v162
	v_add_f32_e32 v99, v100, v99
	v_sub_f32_e32 v100, v211, v127
	v_add_f32_e32 v86, v115, v86
	v_dual_add_f32 v64, v64, v141 :: v_dual_add_f32 v95, v95, v183
	v_add_f32_e32 v83, v84, v83
	s_delay_alu instid0(VALU_DEP_4) | instskip(SKIP_4) | instid1(VALU_DEP_4)
	v_add_f32_e32 v84, v100, v99
	v_sub_f32_e32 v99, v169, v131
	v_add_f32_e32 v111, v120, v171
	v_sub_f32_e32 v61, v128, v61
	v_add_f32_e32 v64, v64, v17
	v_dual_add_f32 v93, v93, v193 :: v_dual_add_f32 v84, v99, v84
	s_delay_alu instid0(VALU_DEP_4) | instskip(SKIP_3) | instid1(VALU_DEP_4)
	v_add_f32_e32 v100, v111, v103
	v_add_f32_e32 v103, v139, v158
	;; [unrolled: 1-line block ×3, first 2 shown]
	v_dual_add_f32 v64, v95, v64 :: v_dual_sub_f32 v89, v182, v89
	v_dual_add_f32 v100, v102, v100 :: v_dual_sub_f32 v99, v167, v129
	v_add_f32_e32 v102, v104, v16
	v_dual_sub_f32 v104, v184, v106 :: v_dual_add_f32 v83, v103, v83
	s_delay_alu instid0(VALU_DEP_3) | instskip(SKIP_1) | instid1(VALU_DEP_3)
	v_add_f32_e32 v86, v86, v100
	v_sub_f32_e32 v100, v194, v113
	v_dual_add_f32 v84, v99, v84 :: v_dual_add_f32 v99, v104, v102
	v_sub_f32_e32 v102, v159, v132
	s_delay_alu instid0(VALU_DEP_4) | instskip(SKIP_1) | instid1(VALU_DEP_4)
	v_add_f32_e32 v86, v97, v86
	v_dual_add_f32 v97, v114, v198 :: v_dual_add_f32 v64, v93, v64
	v_add_f32_e32 v99, v100, v99
	v_dual_sub_f32 v100, v204, v110 :: v_dual_add_f32 v93, v94, v203
	v_sub_f32_e32 v94, v179, v108
	s_delay_alu instid0(VALU_DEP_4) | instskip(SKIP_1) | instid1(VALU_DEP_4)
	v_add_f32_e32 v86, v97, v86
	v_dual_add_f32 v61, v89, v61 :: v_dual_add_f32 v18, v18, v16
	v_add_f32_e32 v97, v100, v99
	v_dual_sub_f32 v99, v210, v105 :: v_dual_add_f32 v64, v93, v64
	v_add_f32_e32 v85, v85, v166
	s_delay_alu instid0(VALU_DEP_4) | instskip(SKIP_1) | instid1(VALU_DEP_4)
	v_add_f32_e32 v18, v44, v18
	v_add_f32_e32 v93, v96, v209
	;; [unrolled: 1-line block ×3, first 2 shown]
	v_sub_f32_e32 v97, v175, v107
	v_sub_f32_e32 v89, v192, v90
	v_add_f32_e32 v18, v46, v18
	v_dual_add_f32 v64, v93, v64 :: v_dual_add_f32 v93, v98, v178
	s_delay_alu instid0(VALU_DEP_4) | instskip(NEXT) | instid1(VALU_DEP_4)
	v_add_f32_e32 v90, v97, v95
	v_add_f32_e32 v61, v89, v61
	v_sub_f32_e32 v89, v202, v91
	s_delay_alu instid0(VALU_DEP_4) | instskip(SKIP_2) | instid1(VALU_DEP_3)
	v_dual_add_f32 v19, v19, v17 :: v_dual_add_f32 v64, v93, v64
	v_dual_sub_f32 v91, v149, v109 :: v_dual_sub_f32 v44, v168, v80
	v_sub_f32_e32 v46, v161, v81
	v_add_f32_e32 v19, v45, v19
	v_add_f32_e32 v61, v89, v61
	v_dual_sub_f32 v89, v173, v92 :: v_dual_add_f32 v90, v94, v90
	s_delay_alu instid0(VALU_DEP_3) | instskip(SKIP_1) | instid1(VALU_DEP_3)
	v_dual_add_f32 v76, v101, v76 :: v_dual_add_f32 v19, v47, v19
	v_add_f32_e32 v47, v48, v18
	v_dual_add_f32 v61, v89, v61 :: v_dual_sub_f32 v48, v122, v52
	s_delay_alu instid0(VALU_DEP_1) | instskip(NEXT) | instid1(VALU_DEP_2)
	v_add_f32_e32 v44, v44, v61
	v_add_f32_e32 v16, v48, v16
	s_delay_alu instid0(VALU_DEP_2) | instskip(SKIP_3) | instid1(VALU_DEP_3)
	v_add_f32_e32 v44, v46, v44
	v_dual_add_f32 v46, v50, v47 :: v_dual_add_f32 v45, v85, v64
	v_dual_add_f32 v64, v88, v172 :: v_dual_add_f32 v85, v91, v90
	v_sub_f32_e32 v47, v160, v82
	v_dual_add_f32 v40, v40, v46 :: v_dual_add_f32 v19, v49, v19
	s_delay_alu instid0(VALU_DEP_3) | instskip(SKIP_1) | instid1(VALU_DEP_3)
	v_add_f32_e32 v18, v64, v45
	v_add_f32_e32 v82, v102, v84
	v_dual_add_f32 v40, v42, v40 :: v_dual_add_f32 v45, v53, v126
	s_delay_alu instid0(VALU_DEP_1) | instskip(SKIP_1) | instid1(VALU_DEP_2)
	v_dual_add_f32 v36, v36, v40 :: v_dual_add_f32 v19, v51, v19
	v_add_f32_e32 v40, v63, v201
	v_dual_add_f32 v36, v38, v36 :: v_dual_add_f32 v19, v41, v19
	s_delay_alu instid0(VALU_DEP_4) | instskip(SKIP_1) | instid1(VALU_DEP_3)
	v_add_f32_e32 v17, v45, v17
	v_sub_f32_e32 v45, v180, v54
	v_add_f32_e32 v32, v32, v36
	s_delay_alu instid0(VALU_DEP_4) | instskip(NEXT) | instid1(VALU_DEP_3)
	v_dual_sub_f32 v36, v208, v65 :: v_dual_add_f32 v19, v43, v19
	v_add_f32_e32 v16, v45, v16
	s_delay_alu instid0(VALU_DEP_2) | instskip(NEXT) | instid1(VALU_DEP_1)
	v_dual_add_f32 v32, v34, v32 :: v_dual_add_f32 v19, v37, v19
	v_add_f32_e32 v20, v20, v32
	s_delay_alu instid0(VALU_DEP_2) | instskip(NEXT) | instid1(VALU_DEP_2)
	v_dual_add_f32 v32, v70, v174 :: v_dual_add_f32 v19, v39, v19
	v_add_f32_e32 v20, v22, v20
	s_delay_alu instid0(VALU_DEP_2) | instskip(NEXT) | instid1(VALU_DEP_1)
	v_dual_add_f32 v22, v72, v188 :: v_dual_add_f32 v19, v33, v19
	v_dual_add_f32 v20, v24, v20 :: v_dual_add_f32 v19, v35, v19
	s_delay_alu instid0(VALU_DEP_1) | instskip(SKIP_1) | instid1(VALU_DEP_3)
	v_add_f32_e32 v24, v26, v20
	v_add_f32_e32 v33, v66, v87
	;; [unrolled: 1-line block ×3, first 2 shown]
	v_sub_f32_e32 v21, v213, v67
	v_sub_f32_e32 v37, v190, v59
	v_dual_add_f32 v41, v55, v181 :: v_dual_add_f32 v12, v12, v24
	s_delay_alu instid0(VALU_DEP_2) | instskip(SKIP_1) | instid1(VALU_DEP_2)
	v_dual_add_f32 v19, v23, v19 :: v_dual_add_f32 v16, v37, v16
	v_sub_f32_e32 v37, v200, v62
	v_add_f32_e32 v19, v25, v19
	s_delay_alu instid0(VALU_DEP_2) | instskip(SKIP_2) | instid1(VALU_DEP_3)
	v_dual_add_f32 v16, v37, v16 :: v_dual_and_b32 v25, 0xffff, v75
	v_add_f32_e32 v17, v41, v17
	v_add_f32_e32 v41, v60, v191
	v_dual_add_f32 v23, v27, v19 :: v_dual_add_f32 v16, v36, v16
	s_delay_alu instid0(VALU_DEP_2) | instskip(NEXT) | instid1(VALU_DEP_2)
	v_add_f32_e32 v17, v41, v17
	v_add_f32_e32 v13, v13, v23
	s_delay_alu instid0(VALU_DEP_3) | instskip(NEXT) | instid1(VALU_DEP_1)
	v_dual_add_f32 v16, v21, v16 :: v_dual_sub_f32 v21, v170, v69
	v_dual_add_f32 v17, v40, v17 :: v_dual_add_f32 v16, v21, v16
	s_delay_alu instid0(VALU_DEP_1) | instskip(SKIP_2) | instid1(VALU_DEP_2)
	v_add_f32_e32 v17, v33, v17
	v_add_f32_e32 v33, v68, v165
	v_sub_f32_e32 v21, v189, v71
	v_add_f32_e32 v17, v33, v17
	s_delay_alu instid0(VALU_DEP_2) | instskip(NEXT) | instid1(VALU_DEP_2)
	v_dual_add_f32 v19, v21, v16 :: v_dual_lshlrev_b32 v16, 3, v25
	v_add_f32_e32 v17, v32, v17
	s_delay_alu instid0(VALU_DEP_1)
	v_dual_add_f32 v20, v22, v17 :: v_dual_add_f32 v17, v47, v44
	ds_store_2addr_b64 v16, v[12:13], v[19:20] offset1:1
	ds_store_2addr_b64 v16, v[17:18], v[85:86] offset0:2 offset1:3
	ds_store_2addr_b64 v16, v[82:83], v[78:79] offset0:4 offset1:5
	;; [unrolled: 1-line block ×7, first 2 shown]
	ds_store_b64 v16, v[57:58] offset:128
.LBB0_7:
	s_wait_alu 0xfffe
	s_or_b32 exec_lo, exec_lo, s0
	v_and_b32_e32 v12, 0xff, v74
	s_load_b128 s[0:3], s[2:3], 0x0
	global_wb scope:SCOPE_SE
	s_wait_dscnt 0x0
	s_wait_kmcnt 0x0
	s_barrier_signal -1
	s_barrier_wait -1
	v_mul_lo_u16 v12, 0xf1, v12
	global_inv scope:SCOPE_SE
	v_lshrrev_b16 v12, 12, v12
	s_delay_alu instid0(VALU_DEP_1) | instskip(NEXT) | instid1(VALU_DEP_1)
	v_mul_lo_u16 v13, v12, 17
	v_sub_nc_u16 v13, v74, v13
	s_delay_alu instid0(VALU_DEP_1) | instskip(NEXT) | instid1(VALU_DEP_1)
	v_and_b32_e32 v46, 0xff, v13
	v_mul_u32_u24_e32 v13, 6, v46
	s_delay_alu instid0(VALU_DEP_1)
	v_lshlrev_b32_e32 v13, 3, v13
	s_clause 0x2
	global_load_b128 v[24:27], v13, s[4:5]
	global_load_b128 v[20:23], v13, s[4:5] offset:16
	global_load_b128 v[16:19], v13, s[4:5] offset:32
	v_add_nc_u32_e32 v60, 0x400, v73
	v_add_nc_u32_e32 v59, 0xc00, v73
	ds_load_2addr_b64 v[32:35], v73 offset1:119
	ds_load_2addr_b64 v[36:39], v60 offset0:110 offset1:229
	ds_load_2addr_b64 v[40:43], v59 offset0:92 offset1:211
	v_and_b32_e32 v44, 0xffff, v12
	ds_load_b64 v[12:13], v73 offset:5712
	global_wb scope:SCOPE_SE
	s_wait_loadcnt_dscnt 0x0
	s_barrier_signal -1
	s_barrier_wait -1
	global_inv scope:SCOPE_SE
	v_dual_mul_f32 v48, v37, v27 :: v_dual_mul_f32 v51, v38, v21
	v_mul_u32_u24_e32 v47, 0x77, v44
	v_dual_mul_f32 v49, v36, v27 :: v_dual_mul_f32 v50, v39, v21
	v_mul_f32_e32 v52, v41, v23
	v_mul_f32_e32 v53, v40, v23
	s_delay_alu instid0(VALU_DEP_4) | instskip(NEXT) | instid1(VALU_DEP_4)
	v_add_lshl_u32 v76, v47, v46, 3
	v_dual_fmac_f32 v49, v37, v26 :: v_dual_mul_f32 v46, v35, v25
	v_mul_f32_e32 v61, v13, v19
	v_mul_f32_e32 v47, v34, v25
	v_dual_mul_f32 v54, v43, v17 :: v_dual_fmac_f32 v53, v41, v22
	v_dual_mul_f32 v55, v42, v17 :: v_dual_mul_f32 v62, v12, v19
	v_fma_f32 v34, v34, v24, -v46
	s_delay_alu instid0(VALU_DEP_4)
	v_fmac_f32_e32 v47, v35, v24
	v_fma_f32 v35, v36, v26, -v48
	v_fma_f32 v36, v38, v20, -v50
	v_fmac_f32_e32 v62, v13, v18
	v_fma_f32 v37, v40, v22, -v52
	v_fmac_f32_e32 v51, v39, v20
	v_fma_f32 v12, v12, v18, -v61
	v_fma_f32 v13, v42, v16, -v54
	s_delay_alu instid0(VALU_DEP_4) | instskip(SKIP_1) | instid1(VALU_DEP_4)
	v_dual_add_f32 v39, v47, v62 :: v_dual_add_f32 v42, v36, v37
	v_sub_f32_e32 v36, v37, v36
	v_add_f32_e32 v38, v34, v12
	s_delay_alu instid0(VALU_DEP_4) | instskip(SKIP_2) | instid1(VALU_DEP_3)
	v_dual_add_f32 v40, v35, v13 :: v_dual_sub_f32 v37, v53, v51
	v_fmac_f32_e32 v55, v43, v16
	v_sub_f32_e32 v13, v35, v13
	v_dual_add_f32 v43, v51, v53 :: v_dual_sub_f32 v48, v40, v38
	v_add_f32_e32 v46, v40, v38
	s_delay_alu instid0(VALU_DEP_4) | instskip(SKIP_2) | instid1(VALU_DEP_3)
	v_dual_sub_f32 v12, v34, v12 :: v_dual_add_f32 v41, v49, v55
	v_dual_sub_f32 v34, v47, v62 :: v_dual_sub_f32 v35, v49, v55
	v_sub_f32_e32 v38, v38, v42
	v_dual_sub_f32 v40, v42, v40 :: v_dual_add_f32 v47, v41, v39
	v_sub_f32_e32 v49, v41, v39
	v_dual_sub_f32 v39, v39, v43 :: v_dual_add_f32 v50, v36, v13
	v_sub_f32_e32 v41, v43, v41
	v_dual_add_f32 v51, v37, v35 :: v_dual_sub_f32 v52, v36, v13
	v_dual_sub_f32 v53, v37, v35 :: v_dual_add_f32 v42, v42, v46
	s_delay_alu instid0(VALU_DEP_4)
	v_dual_sub_f32 v35, v35, v34 :: v_dual_add_f32 v46, v50, v12
	v_dual_sub_f32 v36, v12, v36 :: v_dual_sub_f32 v37, v34, v37
	v_dual_sub_f32 v54, v13, v12 :: v_dual_add_f32 v43, v43, v47
	v_mul_f32_e32 v38, 0x3f4a47b2, v38
	v_dual_add_f32 v34, v51, v34 :: v_dual_mul_f32 v39, 0x3f4a47b2, v39
	v_dual_mul_f32 v47, 0x3d64c772, v40 :: v_dual_mul_f32 v50, 0x3d64c772, v41
	v_dual_mul_f32 v51, 0xbf08b237, v52 :: v_dual_mul_f32 v52, 0xbf08b237, v53
	v_dual_mul_f32 v55, 0x3f5ff5aa, v35 :: v_dual_add_f32 v12, v32, v42
	v_dual_add_f32 v13, v33, v43 :: v_dual_fmamk_f32 v32, v40, 0x3d64c772, v38
	s_delay_alu instid0(VALU_DEP_4)
	v_fma_f32 v40, 0x3f3bfb3b, v48, -v47
	v_fmamk_f32 v33, v41, 0x3d64c772, v39
	v_fma_f32 v41, 0x3f3bfb3b, v49, -v50
	v_fma_f32 v50, 0x3f5ff5aa, v35, -v52
	v_fmamk_f32 v35, v42, 0xbf955555, v12
	v_mul_f32_e32 v53, 0x3f5ff5aa, v54
	v_fma_f32 v38, 0xbf3bfb3b, v48, -v38
	v_fma_f32 v39, 0xbf3bfb3b, v49, -v39
	v_dual_fmamk_f32 v47, v36, 0x3eae86e6, v51 :: v_dual_fmamk_f32 v48, v37, 0x3eae86e6, v52
	v_fma_f32 v49, 0x3f5ff5aa, v54, -v51
	v_add_f32_e32 v42, v32, v35
	v_fma_f32 v51, 0xbeae86e6, v36, -v53
	v_fmamk_f32 v36, v43, 0xbf955555, v13
	v_fma_f32 v52, 0xbeae86e6, v37, -v55
	v_dual_fmac_f32 v47, 0x3ee1c552, v46 :: v_dual_add_f32 v40, v40, v35
	s_delay_alu instid0(VALU_DEP_3)
	v_dual_fmac_f32 v48, 0x3ee1c552, v34 :: v_dual_add_f32 v43, v33, v36
	v_dual_fmac_f32 v50, 0x3ee1c552, v34 :: v_dual_add_f32 v53, v39, v36
	v_fmac_f32_e32 v49, 0x3ee1c552, v46
	v_dual_fmac_f32 v52, 0x3ee1c552, v34 :: v_dual_add_f32 v39, v41, v36
	v_dual_fmac_f32 v51, 0x3ee1c552, v46 :: v_dual_add_f32 v46, v38, v35
	v_mad_co_u64_u32 v[44:45], null, v74, 48, s[4:5]
	v_dual_add_f32 v32, v48, v42 :: v_dual_sub_f32 v33, v43, v47
	v_add_f32_e32 v38, v50, v40
	v_dual_sub_f32 v36, v40, v50 :: v_dual_add_f32 v37, v49, v39
	v_sub_f32_e32 v40, v46, v52
	v_dual_add_f32 v34, v52, v46 :: v_dual_sub_f32 v35, v53, v51
	v_dual_sub_f32 v39, v39, v49 :: v_dual_sub_f32 v42, v42, v48
	v_add_f32_e32 v41, v51, v53
	v_add_f32_e32 v43, v47, v43
	ds_store_2addr_b64 v76, v[12:13], v[32:33] offset1:17
	ds_store_2addr_b64 v76, v[34:35], v[36:37] offset0:34 offset1:51
	ds_store_2addr_b64 v76, v[38:39], v[40:41] offset0:68 offset1:85
	ds_store_b64 v76, v[42:43] offset:816
	global_wb scope:SCOPE_SE
	s_wait_dscnt 0x0
	s_barrier_signal -1
	s_barrier_wait -1
	global_inv scope:SCOPE_SE
	s_clause 0x2
	global_load_b128 v[40:43], v[44:45], off offset:816
	global_load_b128 v[36:39], v[44:45], off offset:832
	;; [unrolled: 1-line block ×3, first 2 shown]
	ds_load_2addr_b64 v[44:47], v73 offset1:119
	ds_load_2addr_b64 v[48:51], v60 offset0:110 offset1:229
	ds_load_2addr_b64 v[52:55], v59 offset0:92 offset1:211
	ds_load_b64 v[12:13], v73 offset:5712
	s_wait_loadcnt_dscnt 0x202
	v_dual_mul_f32 v62, v46, v41 :: v_dual_mul_f32 v63, v49, v43
	s_wait_loadcnt 0x1
	v_mul_f32_e32 v66, v50, v37
	v_dual_mul_f32 v64, v48, v43 :: v_dual_mul_f32 v65, v51, v37
	s_wait_loadcnt_dscnt 0x0
	v_dual_mul_f32 v72, v12, v35 :: v_dual_mul_f32 v69, v55, v33
	v_dual_mul_f32 v61, v47, v41 :: v_dual_mul_f32 v68, v52, v39
	;; [unrolled: 1-line block ×3, first 2 shown]
	v_dual_mul_f32 v71, v13, v35 :: v_dual_fmac_f32 v62, v47, v40
	v_fma_f32 v47, v48, v42, -v63
	v_fmac_f32_e32 v64, v49, v42
	v_fmac_f32_e32 v72, v13, v34
	v_fma_f32 v13, v54, v32, -v69
	v_fma_f32 v46, v46, v40, -v61
	;; [unrolled: 1-line block ×5, first 2 shown]
	v_add_f32_e32 v52, v47, v13
	v_dual_sub_f32 v13, v47, v13 :: v_dual_fmac_f32 v68, v53, v38
	v_fmac_f32_e32 v70, v55, v32
	v_fmac_f32_e32 v66, v51, v36
	v_add_f32_e32 v51, v62, v72
	s_delay_alu instid0(VALU_DEP_3) | instskip(NEXT) | instid1(VALU_DEP_3)
	v_add_f32_e32 v53, v64, v70
	v_dual_add_f32 v55, v66, v68 :: v_dual_add_f32 v54, v48, v49
	v_dual_sub_f32 v48, v49, v48 :: v_dual_sub_f32 v49, v68, v66
	v_dual_add_f32 v50, v46, v12 :: v_dual_sub_f32 v47, v64, v70
	v_sub_f32_e32 v12, v46, v12
	v_sub_f32_e32 v46, v62, v72
	s_delay_alu instid0(VALU_DEP_3)
	v_dual_add_f32 v62, v53, v51 :: v_dual_add_f32 v61, v52, v50
	v_dual_sub_f32 v63, v52, v50 :: v_dual_sub_f32 v64, v53, v51
	v_dual_sub_f32 v51, v51, v55 :: v_dual_sub_f32 v50, v50, v54
	;; [unrolled: 1-line block ×3, first 2 shown]
	v_add_f32_e32 v65, v48, v13
	v_dual_sub_f32 v67, v48, v13 :: v_dual_add_f32 v66, v49, v47
	v_dual_sub_f32 v68, v49, v47 :: v_dual_add_f32 v55, v55, v62
	v_dual_sub_f32 v48, v12, v48 :: v_dual_mul_f32 v51, 0x3f4a47b2, v51
	v_sub_f32_e32 v13, v13, v12
	v_dual_sub_f32 v47, v47, v46 :: v_dual_add_f32 v54, v54, v61
	v_mul_f32_e32 v61, 0x3d64c772, v52
	v_dual_add_f32 v12, v65, v12 :: v_dual_mul_f32 v65, 0xbf08b237, v67
	v_dual_mul_f32 v50, 0x3f4a47b2, v50 :: v_dual_add_f32 v45, v45, v55
	v_dual_mul_f32 v62, 0x3d64c772, v53 :: v_dual_fmamk_f32 v53, v53, 0x3d64c772, v51
	v_sub_f32_e32 v49, v46, v49
	v_fma_f32 v61, 0x3f3bfb3b, v63, -v61
	v_dual_add_f32 v46, v66, v46 :: v_dual_mul_f32 v67, 0x3f5ff5aa, v13
	s_delay_alu instid0(VALU_DEP_4)
	v_fma_f32 v62, 0x3f3bfb3b, v64, -v62
	v_fmamk_f32 v52, v52, 0x3d64c772, v50
	v_fma_f32 v50, 0xbf3bfb3b, v63, -v50
	v_fmamk_f32 v63, v48, 0x3eae86e6, v65
	v_add_f32_e32 v44, v44, v54
	v_fma_f32 v51, 0xbf3bfb3b, v64, -v51
	v_fma_f32 v13, 0x3f5ff5aa, v13, -v65
	s_delay_alu instid0(VALU_DEP_4) | instskip(SKIP_1) | instid1(VALU_DEP_3)
	v_fmac_f32_e32 v63, 0x3ee1c552, v12
	v_mul_f32_e32 v66, 0xbf08b237, v68
	v_fmac_f32_e32 v13, 0x3ee1c552, v12
	s_delay_alu instid0(VALU_DEP_2)
	v_fmamk_f32 v64, v49, 0x3eae86e6, v66
	v_fma_f32 v65, 0x3f5ff5aa, v47, -v66
	v_fma_f32 v66, 0xbeae86e6, v48, -v67
	v_fmamk_f32 v48, v55, 0xbf955555, v45
	v_mul_f32_e32 v68, 0x3f5ff5aa, v47
	v_fmac_f32_e32 v64, 0x3ee1c552, v46
	v_fmamk_f32 v47, v54, 0xbf955555, v44
	v_dual_fmac_f32 v65, 0x3ee1c552, v46 :: v_dual_fmac_f32 v66, 0x3ee1c552, v12
	v_add_f32_e32 v55, v51, v48
	v_fma_f32 v67, 0xbeae86e6, v49, -v68
	v_add_f32_e32 v68, v53, v48
	v_dual_add_f32 v53, v62, v48 :: v_dual_add_f32 v12, v52, v47
	s_delay_alu instid0(VALU_DEP_4) | instskip(NEXT) | instid1(VALU_DEP_4)
	v_dual_add_f32 v52, v61, v47 :: v_dual_sub_f32 v49, v55, v66
	v_dual_fmac_f32 v67, 0x3ee1c552, v46 :: v_dual_add_f32 v54, v50, v47
	s_delay_alu instid0(VALU_DEP_3) | instskip(SKIP_1) | instid1(VALU_DEP_4)
	v_dual_add_f32 v46, v64, v12 :: v_dual_add_f32 v55, v66, v55
	v_sub_f32_e32 v47, v68, v63
	v_sub_f32_e32 v50, v52, v65
	v_add_f32_e32 v51, v13, v53
	v_add_f32_e32 v52, v65, v52
	v_sub_f32_e32 v53, v53, v13
	v_add_f32_e32 v13, v63, v68
	v_add_f32_e32 v48, v67, v54
	v_sub_f32_e32 v54, v54, v67
	v_sub_f32_e32 v12, v12, v64
	ds_store_2addr_b64 v73, v[44:45], v[46:47] offset1:119
	ds_store_2addr_b64 v60, v[48:49], v[50:51] offset0:110 offset1:229
	ds_store_2addr_b64 v59, v[52:53], v[54:55] offset0:92 offset1:211
	ds_store_b64 v73, v[12:13] offset:5712
	global_wb scope:SCOPE_SE
	s_wait_dscnt 0x0
	s_barrier_signal -1
	s_barrier_wait -1
	global_inv scope:SCOPE_SE
	s_and_saveexec_b32 s6, vcc_lo
	s_cbranch_execz .LBB0_9
; %bb.8:
	s_add_nc_u64 s[4:5], s[8:9], 0x1a08
	s_clause 0x10
	global_load_b64 v[64:65], v73, s[8:9] offset:6664
	global_load_b64 v[66:67], v73, s[4:5] offset:392
	;; [unrolled: 1-line block ×17, first 2 shown]
	ds_load_2addr_b64 v[60:63], v73 offset1:49
	s_wait_loadcnt_dscnt 0xf00
	v_dual_mul_f32 v69, v61, v65 :: v_dual_mul_f32 v70, v63, v67
	v_dual_mul_f32 v68, v60, v65 :: v_dual_mul_f32 v65, v62, v67
	s_delay_alu instid0(VALU_DEP_2) | instskip(NEXT) | instid1(VALU_DEP_2)
	v_fma_f32 v67, v60, v64, -v69
	v_dual_fmac_f32 v68, v61, v64 :: v_dual_fmac_f32 v65, v63, v66
	s_delay_alu instid0(VALU_DEP_4)
	v_fma_f32 v64, v62, v66, -v70
	ds_store_2addr_b64 v73, v[67:68], v[64:65] offset1:49
	ds_load_2addr_b64 v[60:63], v73 offset0:98 offset1:147
	v_add_nc_u32_e32 v127, 0x800, v73
	s_wait_loadcnt_dscnt 0xe00
	v_dual_mul_f32 v125, v61, v94 :: v_dual_add_nc_u32 v128, 0x1000, v73
	v_mul_f32_e32 v126, v60, v94
	ds_load_2addr_b64 v[64:67], v73 offset0:196 offset1:245
	ds_load_2addr_b64 v[68:71], v127 offset0:38 offset1:87
	;; [unrolled: 1-line block ×6, first 2 shown]
	ds_load_b64 v[123:124], v73 offset:6272
	s_wait_loadcnt 0xd
	v_mul_f32_e32 v129, v63, v96
	v_mul_f32_e32 v94, v62, v96
	v_fma_f32 v125, v60, v93, -v125
	v_fmac_f32_e32 v126, v61, v93
	s_delay_alu instid0(VALU_DEP_3)
	v_fmac_f32_e32 v94, v63, v95
	s_wait_loadcnt_dscnt 0x704
	v_dual_mul_f32 v134, v78, v106 :: v_dual_mul_f32 v135, v80, v108
	v_mul_f32_e32 v130, v65, v98
	v_dual_mul_f32 v96, v64, v98 :: v_dual_mul_f32 v131, v67, v100
	v_mul_f32_e32 v98, v66, v100
	;; [unrolled: 2-line block ×3, first 2 shown]
	v_mul_f32_e32 v102, v70, v104
	s_wait_loadcnt_dscnt 0x503
	v_dual_mul_f32 v72, v77, v106 :: v_dual_mul_f32 v137, v84, v112
	v_mul_f32_e32 v104, v79, v108
	s_wait_loadcnt_dscnt 0x302
	v_dual_mul_f32 v136, v82, v110 :: v_dual_mul_f32 v139, v88, v116
	s_wait_loadcnt_dscnt 0x101
	v_dual_mul_f32 v106, v81, v110 :: v_dual_mul_f32 v141, v92, v120
	v_mul_f32_e32 v108, v83, v112
	v_mul_f32_e32 v138, v86, v114
	;; [unrolled: 1-line block ×7, first 2 shown]
	s_wait_loadcnt_dscnt 0x0
	v_mul_f32_e32 v120, v124, v122
	v_mul_f32_e32 v118, v123, v122
	v_fma_f32 v93, v62, v95, -v129
	v_fma_f32 v95, v64, v97, -v130
	v_fmac_f32_e32 v96, v65, v97
	v_fma_f32 v97, v66, v99, -v131
	v_fmac_f32_e32 v98, v67, v99
	;; [unrolled: 2-line block ×13, first 2 shown]
	ds_store_2addr_b64 v73, v[125:126], v[93:94] offset0:98 offset1:147
	ds_store_2addr_b64 v73, v[95:96], v[97:98] offset0:196 offset1:245
	;; [unrolled: 1-line block ×7, first 2 shown]
	ds_store_b64 v73, v[117:118] offset:6272
.LBB0_9:
	s_wait_alu 0xfffe
	s_or_b32 exec_lo, exec_lo, s6
	global_wb scope:SCOPE_SE
	s_wait_dscnt 0x0
	s_barrier_signal -1
	s_barrier_wait -1
	global_inv scope:SCOPE_SE
	s_and_saveexec_b32 s4, vcc_lo
	s_cbranch_execz .LBB0_11
; %bb.10:
	v_add_nc_u32_e32 v0, 0x800, v73
	v_add_nc_u32_e32 v1, 0xc00, v73
	;; [unrolled: 1-line block ×3, first 2 shown]
	ds_load_2addr_b64 v[44:47], v73 offset1:49
	ds_load_2addr_b64 v[48:51], v73 offset0:98 offset1:147
	ds_load_2addr_b64 v[52:55], v73 offset0:196 offset1:245
	;; [unrolled: 1-line block ×7, first 2 shown]
	ds_load_b64 v[57:58], v73 offset:6272
.LBB0_11:
	s_wait_alu 0xfffe
	s_or_b32 exec_lo, exec_lo, s4
	global_wb scope:SCOPE_SE
	s_wait_dscnt 0x0
	s_barrier_signal -1
	s_barrier_wait -1
	global_inv scope:SCOPE_SE
	s_and_saveexec_b32 s4, vcc_lo
	s_cbranch_execz .LBB0_13
; %bb.12:
	v_dual_add_f32 v72, v58, v47 :: v_dual_add_f32 v189, v7, v53
	v_dual_sub_f32 v82, v46, v57 :: v_dual_sub_f32 v77, v52, v6
	v_dual_add_f32 v196, v3, v49 :: v_dual_sub_f32 v79, v50, v0
	v_dual_add_f32 v194, v1, v51 :: v_dual_add_f32 v71, v11, v13
	s_delay_alu instid0(VALU_DEP_4) | instskip(SKIP_1) | instid1(VALU_DEP_4)
	v_mul_f32_e32 v96, 0xbf7ba420, v72
	v_sub_f32_e32 v78, v48, v2
	v_dual_mul_f32 v98, 0x3f6eb680, v196 :: v_dual_sub_f32 v81, v12, v10
	s_delay_alu instid0(VALU_DEP_4) | instskip(NEXT) | instid1(VALU_DEP_4)
	v_dual_add_f32 v190, v5, v55 :: v_dual_mul_f32 v99, 0xbf59a7d5, v194
	v_fmamk_f32 v59, v82, 0x3e3c28d5, v96
	v_sub_f32_e32 v80, v54, v4
	v_dual_sub_f32 v156, v47, v58 :: v_dual_sub_f32 v157, v49, v3
	s_delay_alu instid0(VALU_DEP_4) | instskip(NEXT) | instid1(VALU_DEP_4)
	v_fmamk_f32 v61, v79, 0x3f06c442, v99
	v_dual_fmamk_f32 v60, v78, 0xbeb8f4ab, v98 :: v_dual_add_f32 v59, v45, v59
	v_mul_f32_e32 v100, 0x3f3d2fb0, v189
	v_dual_mul_f32 v105, 0xbf1a4643, v190 :: v_dual_sub_f32 v176, v53, v7
	s_delay_alu instid0(VALU_DEP_3) | instskip(NEXT) | instid1(VALU_DEP_3)
	v_dual_add_f32 v84, v57, v46 :: v_dual_add_f32 v59, v60, v59
	v_dual_fmamk_f32 v60, v77, 0xbf2c7751, v100 :: v_dual_add_f32 v85, v2, v48
	v_dual_mul_f32 v102, 0x3ee437d1, v71 :: v_dual_sub_f32 v169, v51, v1
	s_delay_alu instid0(VALU_DEP_3) | instskip(SKIP_2) | instid1(VALU_DEP_3)
	v_dual_add_f32 v59, v61, v59 :: v_dual_mul_f32 v104, 0xbe3c28d5, v156
	v_fmamk_f32 v61, v80, 0x3f4c4adb, v105
	v_dual_add_f32 v179, v9, v15 :: v_dual_add_f32 v88, v6, v52
	v_add_f32_e32 v59, v60, v59
	s_delay_alu instid0(VALU_DEP_4) | instskip(SKIP_1) | instid1(VALU_DEP_4)
	v_fmamk_f32 v62, v84, 0xbf7ba420, v104
	v_dual_fmamk_f32 v60, v81, 0xbf65296c, v102 :: v_dual_add_f32 v87, v0, v50
	v_dual_mul_f32 v101, 0xbe8c1d8e, v179 :: v_dual_sub_f32 v86, v28, v30
	s_delay_alu instid0(VALU_DEP_4) | instskip(NEXT) | instid1(VALU_DEP_4)
	v_add_f32_e32 v59, v61, v59
	v_dual_mul_f32 v103, 0x3eb8f4ab, v157 :: v_dual_add_f32 v62, v44, v62
	v_add_f32_e32 v182, v31, v29
	v_sub_f32_e32 v177, v55, v5
	v_mul_f32_e32 v123, 0xbf59a7d5, v72
	s_delay_alu instid0(VALU_DEP_4) | instskip(NEXT) | instid1(VALU_DEP_4)
	v_fmamk_f32 v61, v85, 0x3f6eb680, v103
	v_dual_add_f32 v59, v60, v59 :: v_dual_mul_f32 v108, 0x3dbcf732, v182
	s_delay_alu instid0(VALU_DEP_4) | instskip(NEXT) | instid1(VALU_DEP_3)
	v_dual_sub_f32 v83, v14, v8 :: v_dual_mul_f32 v94, 0xbf4c4adb, v177
	v_dual_add_f32 v60, v61, v62 :: v_dual_mul_f32 v97, 0xbf06c442, v169
	s_delay_alu instid0(VALU_DEP_2) | instskip(SKIP_1) | instid1(VALU_DEP_3)
	v_dual_add_f32 v89, v4, v54 :: v_dual_fmamk_f32 v62, v83, 0x3f763a35, v101
	v_dual_sub_f32 v173, v13, v11 :: v_dual_mul_f32 v110, 0x3dbcf732, v194
	v_dual_fmamk_f32 v61, v87, 0xbf59a7d5, v97 :: v_dual_add_f32 v90, v10, v12
	s_delay_alu instid0(VALU_DEP_3) | instskip(SKIP_2) | instid1(VALU_DEP_4)
	v_add_f32_e32 v59, v62, v59
	v_fmamk_f32 v62, v86, 0xbf7ee86f, v108
	v_mul_f32_e32 v93, 0x3f2c7751, v176
	v_add_f32_e32 v60, v61, v60
	v_sub_f32_e32 v180, v15, v9
	v_dual_mul_f32 v95, 0x3f65296c, v173 :: v_dual_add_f32 v92, v8, v14
	s_delay_alu instid0(VALU_DEP_4) | instskip(NEXT) | instid1(VALU_DEP_3)
	v_fmamk_f32 v61, v88, 0x3f3d2fb0, v93
	v_dual_sub_f32 v181, v29, v31 :: v_dual_mul_f32 v106, 0xbf763a35, v180
	v_mul_f32_e32 v128, 0x3f65296c, v157
	s_delay_alu instid0(VALU_DEP_3)
	v_dual_fmamk_f32 v63, v90, 0x3ee437d1, v95 :: v_dual_add_f32 v60, v61, v60
	v_fmamk_f32 v61, v89, 0xbf1a4643, v94
	v_mul_f32_e32 v142, 0x3f7ee86f, v177
	v_mul_f32_e32 v113, 0x3dbcf732, v190
	v_fmamk_f32 v64, v82, 0x3f06c442, v123
	v_dual_mul_f32 v114, 0xbf1a4643, v189 :: v_dual_add_f32 v91, v30, v28
	v_dual_add_f32 v61, v61, v60 :: v_dual_add_f32 v60, v62, v59
	v_mul_f32_e32 v107, 0x3f7ee86f, v181
	v_dual_mul_f32 v129, 0xbf7ee86f, v169 :: v_dual_fmamk_f32 v66, v80, 0xbf7ee86f, v113
	v_mul_f32_e32 v109, 0x3ee437d1, v196
	s_delay_alu instid0(VALU_DEP_4) | instskip(SKIP_2) | instid1(VALU_DEP_4)
	v_add_f32_e32 v59, v63, v61
	v_dual_fmamk_f32 v63, v92, 0xbe8c1d8e, v106 :: v_dual_mul_f32 v122, 0xbe8c1d8e, v196
	v_mul_f32_e32 v127, 0xbf06c442, v156
	v_fmamk_f32 v62, v78, 0xbf65296c, v109
	v_dual_mul_f32 v149, 0xbe3c28d5, v173 :: v_dual_mul_f32 v144, 0xbe3c28d5, v180
	v_mul_f32_e32 v121, 0xbf7ba420, v71
	v_add_f32_e32 v59, v63, v59
	v_fmamk_f32 v63, v91, 0x3dbcf732, v107
	v_dual_add_f32 v61, v45, v64 :: v_dual_mul_f32 v112, 0xbf59a7d5, v189
	v_mul_f32_e32 v132, 0x3f4c4adb, v176
	v_mul_f32_e32 v125, 0xbf1a4643, v72
	s_delay_alu instid0(VALU_DEP_4) | instskip(SKIP_4) | instid1(VALU_DEP_4)
	v_add_f32_e32 v59, v63, v59
	v_fmamk_f32 v63, v84, 0xbf59a7d5, v127
	v_dual_add_f32 v61, v62, v61 :: v_dual_fmamk_f32 v62, v79, 0x3f7ee86f, v110
	v_mul_f32_e32 v148, 0xbeb8f4ab, v177
	v_mul_f32_e32 v115, 0x3f6eb680, v190
	v_dual_add_f32 v63, v44, v63 :: v_dual_fmamk_f32 v64, v85, 0x3ee437d1, v128
	v_mul_f32_e32 v166, 0x3f06c442, v157
	v_mul_f32_e32 v124, 0xbf763a35, v181
	;; [unrolled: 1-line block ×4, first 2 shown]
	v_dual_add_f32 v63, v64, v63 :: v_dual_fmamk_f32 v64, v87, 0x3dbcf732, v129
	v_fmamk_f32 v68, v85, 0xbf59a7d5, v166
	v_mul_f32_e32 v137, 0x3f2c7751, v180
	v_mul_f32_e32 v117, 0xbe8c1d8e, v182
	s_delay_alu instid0(VALU_DEP_4) | instskip(SKIP_3) | instid1(VALU_DEP_3)
	v_dual_mul_f32 v130, 0xbeb8f4ab, v169 :: v_dual_add_f32 v63, v64, v63
	v_fmamk_f32 v64, v88, 0xbf1a4643, v132
	v_dual_fmamk_f32 v65, v78, 0xbf763a35, v122 :: v_dual_mul_f32 v164, 0xbf763a35, v156
	v_mul_f32_e32 v111, 0x3f6eb680, v194
	v_dual_mul_f32 v158, 0x3ee437d1, v190 :: v_dual_add_f32 v63, v64, v63
	v_dual_fmamk_f32 v64, v89, 0x3f6eb680, v148 :: v_dual_add_f32 v61, v62, v61
	v_fmamk_f32 v62, v77, 0xbf4c4adb, v114
	v_mul_f32_e32 v118, 0x3f3d2fb0, v71
	v_dual_mul_f32 v131, 0xbf06c442, v176 :: v_dual_mul_f32 v208, 0xbf06c442, v173
	s_delay_alu instid0(VALU_DEP_4) | instskip(NEXT) | instid1(VALU_DEP_4)
	v_add_f32_e32 v63, v64, v63
	v_dual_add_f32 v61, v62, v61 :: v_dual_fmamk_f32 v62, v80, 0x3eb8f4ab, v115
	v_fmamk_f32 v64, v90, 0xbf7ba420, v149
	v_dual_mul_f32 v133, 0x3f65296c, v181 :: v_dual_fmamk_f32 v70, v80, 0x3f65296c, v158
	s_delay_alu instid0(VALU_DEP_3) | instskip(NEXT) | instid1(VALU_DEP_3)
	v_dual_mul_f32 v154, 0x3f3d2fb0, v190 :: v_dual_add_f32 v61, v62, v61
	v_dual_fmamk_f32 v62, v81, 0x3e3c28d5, v121 :: v_dual_add_f32 v63, v64, v63
	v_fmamk_f32 v64, v92, 0x3f3d2fb0, v137
	v_mul_f32_e32 v120, 0x3ee437d1, v182
	v_mul_f32_e32 v143, 0xbf2c7751, v173
	s_delay_alu instid0(VALU_DEP_4) | instskip(NEXT) | instid1(VALU_DEP_4)
	v_dual_add_f32 v61, v62, v61 :: v_dual_fmamk_f32 v62, v83, 0xbf2c7751, v116
	v_dual_add_f32 v63, v64, v63 :: v_dual_mul_f32 v160, 0xbf59a7d5, v196
	v_fmamk_f32 v64, v91, 0xbe8c1d8e, v124
	v_mul_f32_e32 v119, 0xbf7ba420, v179
	s_delay_alu instid0(VALU_DEP_4) | instskip(SKIP_3) | instid1(VALU_DEP_3)
	v_add_f32_e32 v61, v62, v61
	v_dual_fmamk_f32 v62, v86, 0x3f763a35, v117 :: v_dual_mul_f32 v191, 0x3f763a35, v169
	v_mul_f32_e32 v159, 0xbe8c1d8e, v72
	v_dual_mul_f32 v201, 0xbf4c4adb, v157 :: v_dual_add_f32 v46, v46, v44
	v_add_f32_e32 v62, v62, v61
	v_fmamk_f32 v61, v82, 0x3f4c4adb, v125
	s_delay_alu instid0(VALU_DEP_3) | instskip(SKIP_2) | instid1(VALU_DEP_4)
	v_dual_mul_f32 v167, 0xbf1a4643, v179 :: v_dual_fmamk_f32 v184, v85, 0xbf1a4643, v201
	v_fmamk_f32 v67, v78, 0xbf06c442, v160
	v_mul_f32_e32 v183, 0x3f2c7751, v181
	v_add_f32_e32 v61, v45, v61
	v_mul_f32_e32 v161, 0x3f3d2fb0, v194
	v_mul_f32_e32 v162, 0x3ee437d1, v189
	v_dual_add_f32 v47, v47, v45 :: v_dual_mul_f32 v126, 0xbf65296c, v176
	s_delay_alu instid0(VALU_DEP_4)
	v_add_f32_e32 v61, v65, v61
	v_fmamk_f32 v65, v79, 0x3eb8f4ab, v111
	v_mul_f32_e32 v136, 0x3f7ee86f, v173
	v_mul_f32_e32 v188, 0xbe3c28d5, v157
	;; [unrolled: 1-line block ×4, first 2 shown]
	v_add_f32_e32 v61, v65, v61
	v_fmamk_f32 v65, v77, 0x3f06c442, v112
	v_dual_add_f32 v49, v49, v47 :: v_dual_mul_f32 v146, 0xbf1a4643, v182
	v_mul_f32_e32 v47, 0xbf1a4643, v71
	v_mul_f32_e32 v195, 0x3eb8f4ab, v176
	s_delay_alu instid0(VALU_DEP_4) | instskip(SKIP_2) | instid1(VALU_DEP_3)
	v_add_f32_e32 v65, v65, v61
	v_dual_add_f32 v61, v64, v63 :: v_dual_mul_f32 v150, 0xbf7ba420, v196
	v_add_f32_e32 v49, v51, v49
	v_dual_fmamk_f32 v51, v81, 0x3f4c4adb, v47 :: v_dual_add_f32 v64, v66, v65
	v_fmamk_f32 v65, v81, 0x3f2c7751, v118
	v_fmamk_f32 v185, v88, 0xbe8c1d8e, v193
	v_mul_f32_e32 v165, 0x3dbcf732, v71
	v_mul_f32_e32 v145, 0x3f6eb680, v179
	v_dual_mul_f32 v155, 0x3f6eb680, v189 :: v_dual_mul_f32 v170, 0x3f6eb680, v71
	v_dual_add_f32 v64, v65, v64 :: v_dual_fmamk_f32 v65, v83, 0x3e3c28d5, v119
	v_mul_f32_e32 v192, 0x3e3c28d5, v169
	v_mul_f32_e32 v140, 0xbf4c4adb, v181
	v_fmamk_f32 v66, v85, 0xbe8c1d8e, v141
	v_mul_f32_e32 v174, 0xbf59a7d5, v71
	v_dual_add_f32 v64, v65, v64 :: v_dual_fmamk_f32 v65, v86, 0xbf65296c, v120
	v_mul_f32_e32 v147, 0x3f2c7751, v169
	v_mul_f32_e32 v152, 0xbf7ba420, v194
	;; [unrolled: 1-line block ×3, first 2 shown]
	s_delay_alu instid0(VALU_DEP_4) | instskip(SKIP_4) | instid1(VALU_DEP_4)
	v_dual_fmamk_f32 v69, v88, 0x3ee437d1, v126 :: v_dual_add_f32 v64, v65, v64
	v_fmamk_f32 v65, v82, 0x3f763a35, v159
	v_mul_f32_e32 v171, 0x3dbcf732, v179
	v_mul_f32_e32 v186, 0x3ee437d1, v72
	v_dual_mul_f32 v151, 0xbe8c1d8e, v194 :: v_dual_mul_f32 v218, 0xbe8c1d8e, v71
	v_add_f32_e32 v65, v45, v65
	v_dual_mul_f32 v175, 0xbf1a4643, v196 :: v_dual_mul_f32 v214, 0xbf1a4643, v194
	v_mul_f32_e32 v205, 0x3ee437d1, v179
	v_mul_f32_e32 v199, 0x3f4c4adb, v180
	s_delay_alu instid0(VALU_DEP_4) | instskip(SKIP_4) | instid1(VALU_DEP_4)
	v_add_f32_e32 v65, v67, v65
	v_fmamk_f32 v67, v79, 0xbf2c7751, v161
	v_mul_f32_e32 v187, 0xbf7ee86f, v156
	v_fmamk_f32 v210, v83, 0xbf65296c, v205
	v_mul_f32_e32 v153, 0xbe8c1d8e, v189
	v_dual_mul_f32 v216, 0xbf59a7d5, v190 :: v_dual_add_f32 v65, v67, v65
	v_fmamk_f32 v67, v77, 0x3f65296c, v162
	v_mul_f32_e32 v190, 0xbe8c1d8e, v190
	v_mul_f32_e32 v202, 0x3f2c7751, v177
	;; [unrolled: 1-line block ×4, first 2 shown]
	v_add_f32_e32 v65, v67, v65
	v_fmamk_f32 v67, v80, 0x3e3c28d5, v163
	v_mul_f32_e32 v213, 0x3dbcf732, v196
	v_mul_f32_e32 v203, 0xbeb8f4ab, v173
	v_fmac_f32_e32 v102, 0x3f65296c, v81
	v_add_f32_e32 v49, v53, v49
	v_add_f32_e32 v65, v67, v65
	v_fmamk_f32 v67, v81, 0xbf7ee86f, v165
	v_fmac_f32_e32 v108, 0x3f7ee86f, v86
	v_fmac_f32_e32 v109, 0x3f65296c, v78
	v_dual_mul_f32 v178, 0x3dbcf732, v72 :: v_dual_add_f32 v49, v55, v49
	s_delay_alu instid0(VALU_DEP_4)
	v_add_f32_e32 v65, v67, v65
	v_fmamk_f32 v67, v83, 0x3eb8f4ab, v145
	v_fmac_f32_e32 v114, 0x3f4c4adb, v77
	v_fmac_f32_e32 v121, 0xbe3c28d5, v81
	v_add_f32_e32 v49, v13, v49
	v_fmac_f32_e32 v99, 0xbf06c442, v79
	v_add_f32_e32 v65, v67, v65
	v_fmamk_f32 v67, v86, 0x3f4c4adb, v146
	v_mul_f32_e32 v139, 0xbf4c4adb, v156
	v_dual_mul_f32 v138, 0xbeb8f4ab, v180 :: v_dual_add_f32 v15, v15, v49
	v_fmac_f32_e32 v105, 0xbf4c4adb, v80
	v_fmac_f32_e32 v116, 0x3f2c7751, v83
	s_delay_alu instid0(VALU_DEP_4) | instskip(NEXT) | instid1(VALU_DEP_4)
	v_fmamk_f32 v63, v84, 0xbf1a4643, v139
	v_dual_mul_f32 v168, 0x3f3d2fb0, v182 :: v_dual_add_f32 v15, v29, v15
	v_fmac_f32_e32 v125, 0xbf4c4adb, v82
	v_fmac_f32_e32 v123, 0xbf06c442, v82
	s_delay_alu instid0(VALU_DEP_4) | instskip(NEXT) | instid1(VALU_DEP_4)
	v_dual_add_f32 v63, v44, v63 :: v_dual_fmac_f32 v122, 0x3f763a35, v78
	v_add_f32_e32 v15, v31, v15
	v_mul_f32_e32 v31, 0xbf763a35, v177
	v_fmamk_f32 v134, v78, 0x3f4c4adb, v175
	s_delay_alu instid0(VALU_DEP_4) | instskip(NEXT) | instid1(VALU_DEP_4)
	v_dual_add_f32 v63, v66, v63 :: v_dual_fmamk_f32 v66, v87, 0x3f6eb680, v130
	v_add_f32_e32 v9, v9, v15
	v_fmac_f32_e32 v175, 0xbf4c4adb, v78
	v_mul_f32_e32 v206, 0xbf65296c, v177
	s_delay_alu instid0(VALU_DEP_4) | instskip(NEXT) | instid1(VALU_DEP_4)
	v_dual_add_f32 v48, v48, v46 :: v_dual_add_f32 v63, v66, v63
	v_dual_fmamk_f32 v66, v88, 0xbf59a7d5, v131 :: v_dual_add_f32 v9, v11, v9
	v_mul_f32_e32 v172, 0xbf59a7d5, v182
	s_delay_alu instid0(VALU_DEP_3) | instskip(NEXT) | instid1(VALU_DEP_3)
	v_add_f32_e32 v48, v50, v48
	v_dual_mul_f32 v200, 0xbf65296c, v156 :: v_dual_add_f32 v63, v66, v63
	v_fmamk_f32 v66, v89, 0x3dbcf732, v142
	v_fmac_f32_e32 v113, 0x3f7ee86f, v80
	v_fmac_f32_e32 v115, 0xbeb8f4ab, v80
	v_dual_add_f32 v5, v5, v9 :: v_dual_mul_f32 v204, 0xbf7ee86f, v180
	s_delay_alu instid0(VALU_DEP_4) | instskip(SKIP_1) | instid1(VALU_DEP_3)
	v_add_f32_e32 v63, v66, v63
	v_fmamk_f32 v66, v90, 0x3f3d2fb0, v143
	v_dual_mul_f32 v212, 0x3f3d2fb0, v72 :: v_dual_add_f32 v5, v7, v5
	v_fmamk_f32 v198, v80, 0xbf06c442, v216
	s_delay_alu instid0(VALU_DEP_3)
	v_dual_add_f32 v48, v52, v48 :: v_dual_add_f32 v63, v66, v63
	v_fmamk_f32 v66, v92, 0xbf7ba420, v144
	v_mul_f32_e32 v52, 0xbf2c7751, v157
	v_add_f32_e32 v1, v1, v5
	v_fmac_f32_e32 v119, 0xbe3c28d5, v83
	v_fmac_f32_e32 v111, 0xbeb8f4ab, v79
	v_dual_add_f32 v63, v66, v63 :: v_dual_fmamk_f32 v66, v91, 0x3ee437d1, v133
	s_delay_alu instid0(VALU_DEP_4) | instskip(SKIP_1) | instid1(VALU_DEP_3)
	v_dual_add_f32 v1, v3, v1 :: v_dual_add_f32 v48, v54, v48
	v_mul_f32_e32 v215, 0xbf7ba420, v189
	v_dual_mul_f32 v54, 0xbf65296c, v169 :: v_dual_add_f32 v63, v66, v63
	v_fmamk_f32 v66, v84, 0xbe8c1d8e, v164
	s_delay_alu instid0(VALU_DEP_4)
	v_add_f32_e32 v12, v12, v48
	v_fmac_f32_e32 v96, 0xbe3c28d5, v82
	v_mul_f32_e32 v156, 0xbeb8f4ab, v156
	v_fmac_f32_e32 v98, 0x3eb8f4ab, v78
	v_add_f32_e32 v66, v44, v66
	v_dual_add_f32 v12, v14, v12 :: v_dual_mul_f32 v219, 0xbf7ee86f, v157
	v_dual_add_f32 v11, v45, v96 :: v_dual_mul_f32 v46, 0xbf59a7d5, v179
	s_delay_alu instid0(VALU_DEP_3) | instskip(SKIP_1) | instid1(VALU_DEP_4)
	v_add_f32_e32 v66, v68, v66
	v_fmamk_f32 v68, v87, 0x3f3d2fb0, v147
	v_dual_add_f32 v28, v28, v12 :: v_dual_fmamk_f32 v209, v85, 0x3dbcf732, v219
	s_delay_alu instid0(VALU_DEP_4) | instskip(NEXT) | instid1(VALU_DEP_3)
	v_dual_add_f32 v9, v98, v11 :: v_dual_fmac_f32 v100, 0x3f2c7751, v77
	v_add_f32_e32 v68, v68, v66
	v_dual_add_f32 v66, v67, v65 :: v_dual_fmamk_f32 v65, v82, 0x3f7ee86f, v178
	s_delay_alu instid0(VALU_DEP_4) | instskip(NEXT) | instid1(VALU_DEP_3)
	v_dual_add_f32 v15, v30, v28 :: v_dual_mul_f32 v30, 0xbf4c4adb, v173
	v_add_f32_e32 v67, v69, v68
	v_fmamk_f32 v68, v89, 0xbf7ba420, v135
	s_delay_alu instid0(VALU_DEP_4) | instskip(NEXT) | instid1(VALU_DEP_4)
	v_add_f32_e32 v65, v45, v65
	v_dual_fmamk_f32 v69, v78, 0x3e3c28d5, v150 :: v_dual_add_f32 v8, v8, v15
	v_fmamk_f32 v15, v90, 0xbf1a4643, v30
	s_delay_alu instid0(VALU_DEP_4) | instskip(NEXT) | instid1(VALU_DEP_3)
	v_dual_add_f32 v67, v68, v67 :: v_dual_fmamk_f32 v68, v90, 0x3dbcf732, v136
	v_add_f32_e32 v65, v69, v65
	v_fmamk_f32 v69, v79, 0xbf763a35, v151
	v_fmamk_f32 v28, v89, 0xbe8c1d8e, v31
	s_delay_alu instid0(VALU_DEP_4) | instskip(NEXT) | instid1(VALU_DEP_3)
	v_dual_add_f32 v8, v10, v8 :: v_dual_add_f32 v67, v68, v67
	v_dual_fmamk_f32 v68, v92, 0x3f6eb680, v138 :: v_dual_add_f32 v65, v69, v65
	s_delay_alu instid0(VALU_DEP_2) | instskip(SKIP_1) | instid1(VALU_DEP_3)
	v_dual_fmamk_f32 v69, v77, 0xbeb8f4ab, v155 :: v_dual_add_f32 v4, v4, v8
	v_add_f32_e32 v7, v99, v9
	v_dual_add_f32 v67, v68, v67 :: v_dual_fmamk_f32 v68, v91, 0xbf1a4643, v140
	s_delay_alu instid0(VALU_DEP_3) | instskip(SKIP_1) | instid1(VALU_DEP_4)
	v_dual_add_f32 v69, v69, v65 :: v_dual_add_f32 v4, v6, v4
	v_fma_f32 v30, 0xbf1a4643, v90, -v30
	v_add_f32_e32 v5, v100, v7
	s_delay_alu instid0(VALU_DEP_3)
	v_dual_add_f32 v65, v68, v67 :: v_dual_add_f32 v68, v70, v69
	v_fmamk_f32 v69, v81, 0x3f06c442, v174
	v_fmamk_f32 v67, v84, 0x3dbcf732, v187
	v_add_f32_e32 v0, v0, v4
	v_fma_f32 v4, 0xbf7ba420, v84, -v104
	v_add_f32_e32 v3, v105, v5
	v_dual_add_f32 v68, v69, v68 :: v_dual_fmamk_f32 v69, v83, 0xbf4c4adb, v167
	v_dual_add_f32 v67, v44, v67 :: v_dual_fmamk_f32 v70, v85, 0xbf7ba420, v188
	v_add_f32_e32 v0, v2, v0
	v_fma_f32 v5, 0xbf59a7d5, v87, -v97
	s_delay_alu instid0(VALU_DEP_4) | instskip(NEXT) | instid1(VALU_DEP_4)
	v_dual_add_f32 v68, v69, v68 :: v_dual_fmamk_f32 v69, v86, 0xbf2c7751, v168
	v_dual_add_f32 v67, v70, v67 :: v_dual_fmamk_f32 v70, v87, 0xbe8c1d8e, v191
	s_delay_alu instid0(VALU_DEP_4) | instskip(NEXT) | instid1(VALU_DEP_3)
	v_dual_add_f32 v0, v57, v0 :: v_dual_fmac_f32 v159, 0xbf763a35, v82
	v_dual_add_f32 v68, v69, v68 :: v_dual_fmamk_f32 v69, v82, 0x3f65296c, v186
	v_fma_f32 v57, 0x3dbcf732, v85, -v219
	v_dual_add_f32 v2, v102, v3 :: v_dual_add_f32 v3, v44, v4
	v_fmac_f32_e32 v112, 0xbf06c442, v77
	s_delay_alu instid0(VALU_DEP_4)
	v_add_f32_e32 v69, v45, v69
	v_fmac_f32_e32 v101, 0xbf763a35, v83
	v_fmamk_f32 v53, v84, 0x3f6eb680, v156
	v_fma_f32 v4, 0x3f6eb680, v85, -v103
	v_fmac_f32_e32 v118, 0xbf2c7751, v81
	v_dual_add_f32 v69, v134, v69 :: v_dual_fmamk_f32 v134, v79, 0xbe3c28d5, v152
	v_add_f32_e32 v2, v101, v2
	s_delay_alu instid0(VALU_DEP_4) | instskip(NEXT) | instid1(VALU_DEP_3)
	v_dual_add_f32 v4, v4, v3 :: v_dual_mul_f32 v13, 0xbf7ba420, v182
	v_dual_fmac_f32 v110, 0xbf7ee86f, v79 :: v_dual_add_f32 v69, v134, v69
	v_dual_fmamk_f32 v134, v77, 0xbf763a35, v153 :: v_dual_add_f32 v67, v70, v67
	v_fmamk_f32 v70, v88, 0x3f6eb680, v195
	v_add_f32_e32 v3, v108, v2
	v_fma_f32 v2, 0xbf59a7d5, v84, -v127
	s_delay_alu instid0(VALU_DEP_4) | instskip(NEXT) | instid1(VALU_DEP_4)
	v_dual_add_f32 v69, v134, v69 :: v_dual_add_f32 v4, v5, v4
	v_dual_add_f32 v67, v70, v67 :: v_dual_fmamk_f32 v70, v89, 0x3ee437d1, v206
	v_fma_f32 v5, 0x3f3d2fb0, v88, -v93
	s_delay_alu instid0(VALU_DEP_4) | instskip(SKIP_1) | instid1(VALU_DEP_3)
	v_dual_fmamk_f32 v49, v87, 0x3ee437d1, v54 :: v_dual_add_f32 v2, v44, v2
	v_fmamk_f32 v14, v86, 0x3e3c28d5, v13
	v_dual_add_f32 v67, v70, v67 :: v_dual_add_f32 v4, v5, v4
	v_fmamk_f32 v70, v90, 0xbf59a7d5, v208
	v_fma_f32 v5, 0xbf1a4643, v89, -v94
	v_fmac_f32_e32 v145, 0xbeb8f4ab, v83
	v_fmac_f32_e32 v117, 0xbf763a35, v86
	s_delay_alu instid0(VALU_DEP_4) | instskip(SKIP_4) | instid1(VALU_DEP_4)
	v_dual_fmac_f32 v162, 0xbf65296c, v77 :: v_dual_add_f32 v67, v70, v67
	v_fmamk_f32 v70, v92, 0xbf1a4643, v199
	v_add_f32_e32 v4, v5, v4
	v_fma_f32 v5, 0x3ee437d1, v90, -v95
	v_fmac_f32_e32 v160, 0x3f06c442, v78
	v_dual_fmac_f32 v120, 0x3f65296c, v86 :: v_dual_add_f32 v67, v70, v67
	v_fmamk_f32 v70, v91, 0x3f3d2fb0, v183
	v_fmamk_f32 v134, v80, 0xbf2c7751, v154
	v_add_f32_e32 v4, v5, v4
	v_fma_f32 v5, 0xbe8c1d8e, v92, -v106
	s_delay_alu instid0(VALU_DEP_4) | instskip(NEXT) | instid1(VALU_DEP_4)
	v_dual_fmac_f32 v178, 0xbf7ee86f, v82 :: v_dual_add_f32 v67, v70, v67
	v_dual_fmamk_f32 v70, v84, 0x3ee437d1, v200 :: v_dual_add_f32 v69, v134, v69
	v_fmamk_f32 v134, v81, 0x3eb8f4ab, v170
	s_delay_alu instid0(VALU_DEP_4) | instskip(SKIP_1) | instid1(VALU_DEP_4)
	v_add_f32_e32 v4, v5, v4
	v_fma_f32 v5, 0x3dbcf732, v91, -v107
	v_add_f32_e32 v70, v44, v70
	v_fmac_f32_e32 v170, 0xbeb8f4ab, v81
	v_dual_add_f32 v69, v134, v69 :: v_dual_fmamk_f32 v134, v83, 0x3f7ee86f, v171
	v_fmac_f32_e32 v146, 0xbf4c4adb, v86
	s_delay_alu instid0(VALU_DEP_4) | instskip(SKIP_1) | instid1(VALU_DEP_4)
	v_add_f32_e32 v70, v184, v70
	v_fmamk_f32 v184, v87, 0xbf7ba420, v192
	v_dual_fmac_f32 v150, 0xbe3c28d5, v78 :: v_dual_add_f32 v69, v134, v69
	v_fmamk_f32 v134, v86, 0x3f06c442, v172
	v_fmac_f32_e32 v158, 0xbf65296c, v80
	s_delay_alu instid0(VALU_DEP_4) | instskip(SKIP_3) | instid1(VALU_DEP_4)
	v_add_f32_e32 v184, v184, v70
	v_fmac_f32_e32 v174, 0xbf06c442, v81
	v_fmac_f32_e32 v152, 0x3e3c28d5, v79
	v_add_f32_e32 v70, v134, v69
	v_dual_fmamk_f32 v69, v82, 0x3f2c7751, v212 :: v_dual_add_f32 v134, v185, v184
	v_fmamk_f32 v184, v89, 0x3f3d2fb0, v202
	v_fmamk_f32 v185, v78, 0x3f7ee86f, v213
	s_delay_alu instid0(VALU_DEP_3) | instskip(SKIP_1) | instid1(VALU_DEP_4)
	v_dual_fmac_f32 v168, 0x3f2c7751, v86 :: v_dual_add_f32 v69, v45, v69
	v_fmac_f32_e32 v186, 0xbf65296c, v82
	v_add_f32_e32 v134, v184, v134
	v_fmamk_f32 v184, v90, 0x3f6eb680, v203
	s_delay_alu instid0(VALU_DEP_4) | instskip(SKIP_2) | instid1(VALU_DEP_4)
	v_dual_fmac_f32 v154, 0x3f2c7751, v80 :: v_dual_add_f32 v69, v185, v69
	v_fmamk_f32 v185, v79, 0x3f4c4adb, v214
	v_fmac_f32_e32 v212, 0xbf2c7751, v82
	v_add_f32_e32 v134, v184, v134
	v_fmamk_f32 v184, v92, 0x3dbcf732, v204
	v_fmac_f32_e32 v171, 0xbf7ee86f, v83
	v_add_f32_e32 v69, v185, v69
	v_fmamk_f32 v185, v77, 0x3e3c28d5, v215
	s_delay_alu instid0(VALU_DEP_4) | instskip(SKIP_2) | instid1(VALU_DEP_4)
	v_dual_fmac_f32 v215, 0xbe3c28d5, v77 :: v_dual_add_f32 v134, v184, v134
	v_fmamk_f32 v184, v91, 0xbf59a7d5, v197
	v_fmac_f32_e32 v47, 0xbf4c4adb, v81
	v_add_f32_e32 v185, v185, v69
	v_fmac_f32_e32 v13, 0xbe3c28d5, v86
	s_delay_alu instid0(VALU_DEP_2) | instskip(NEXT) | instid1(VALU_DEP_1)
	v_dual_add_f32 v185, v198, v185 :: v_dual_fmamk_f32 v198, v81, 0xbf763a35, v218
	v_dual_add_f32 v198, v198, v185 :: v_dual_mul_f32 v185, 0xbe3c28d5, v176
	s_delay_alu instid0(VALU_DEP_1) | instskip(SKIP_4) | instid1(VALU_DEP_3)
	v_add_f32_e32 v210, v210, v198
	v_dual_mul_f32 v198, 0x3f06c442, v177 :: v_dual_add_f32 v69, v184, v134
	v_fmamk_f32 v134, v84, 0x3f3d2fb0, v217
	v_mul_f32_e32 v184, 0xbf4c4adb, v169
	v_fmamk_f32 v221, v88, 0xbf7ba420, v185
	v_add_f32_e32 v207, v44, v134
	s_delay_alu instid0(VALU_DEP_3) | instskip(NEXT) | instid1(VALU_DEP_2)
	v_fmamk_f32 v211, v87, 0xbf1a4643, v184
	v_dual_mul_f32 v134, 0x3f6eb680, v182 :: v_dual_add_f32 v209, v209, v207
	v_mul_f32_e32 v207, 0x3f6eb680, v72
	s_delay_alu instid0(VALU_DEP_2) | instskip(NEXT) | instid1(VALU_DEP_3)
	v_fmamk_f32 v220, v86, 0xbeb8f4ab, v134
	v_dual_fmac_f32 v134, 0x3eb8f4ab, v86 :: v_dual_add_f32 v211, v211, v209
	v_mul_f32_e32 v209, 0x3f3d2fb0, v196
	v_mul_f32_e32 v196, 0x3f763a35, v173
	s_delay_alu instid0(VALU_DEP_4) | instskip(NEXT) | instid1(VALU_DEP_4)
	v_add_f32_e32 v72, v220, v210
	v_dual_fmamk_f32 v210, v82, 0x3eb8f4ab, v207 :: v_dual_add_f32 v211, v221, v211
	v_fmamk_f32 v220, v89, 0xbf59a7d5, v198
	s_delay_alu instid0(VALU_DEP_4) | instskip(NEXT) | instid1(VALU_DEP_3)
	v_fmamk_f32 v223, v90, 0xbe8c1d8e, v196
	v_dual_fmamk_f32 v222, v78, 0x3f2c7751, v209 :: v_dual_add_f32 v221, v45, v210
	v_mul_f32_e32 v210, 0x3ee437d1, v194
	s_delay_alu instid0(VALU_DEP_4) | instskip(NEXT) | instid1(VALU_DEP_3)
	v_dual_add_f32 v220, v220, v211 :: v_dual_mul_f32 v211, 0x3dbcf732, v189
	v_dual_mul_f32 v194, 0x3f65296c, v180 :: v_dual_add_f32 v221, v222, v221
	s_delay_alu instid0(VALU_DEP_3) | instskip(NEXT) | instid1(VALU_DEP_3)
	v_fmamk_f32 v222, v79, 0x3f65296c, v210
	v_dual_add_f32 v220, v223, v220 :: v_dual_mul_f32 v189, 0x3eb8f4ab, v181
	s_delay_alu instid0(VALU_DEP_3) | instskip(NEXT) | instid1(VALU_DEP_3)
	v_fmamk_f32 v223, v92, 0x3ee437d1, v194
	v_dual_fmac_f32 v210, 0xbf65296c, v79 :: v_dual_add_f32 v221, v222, v221
	v_fmamk_f32 v222, v77, 0x3f7ee86f, v211
	s_delay_alu instid0(VALU_DEP_3) | instskip(SKIP_1) | instid1(VALU_DEP_3)
	v_add_f32_e32 v220, v223, v220
	v_fmamk_f32 v223, v91, 0x3f6eb680, v189
	v_dual_add_f32 v221, v222, v221 :: v_dual_fmamk_f32 v222, v80, 0x3f763a35, v190
	v_fmac_f32_e32 v190, 0xbf763a35, v80
	s_delay_alu instid0(VALU_DEP_2) | instskip(NEXT) | instid1(VALU_DEP_1)
	v_dual_add_f32 v71, v223, v220 :: v_dual_add_f32 v220, v222, v221
	v_add_f32_e32 v50, v51, v220
	v_fmamk_f32 v51, v83, 0x3f06c442, v46
	v_fmac_f32_e32 v46, 0xbf06c442, v83
	s_delay_alu instid0(VALU_DEP_2) | instskip(NEXT) | instid1(VALU_DEP_1)
	v_dual_add_f32 v50, v51, v50 :: v_dual_add_f32 v51, v44, v53
	v_dual_fmamk_f32 v53, v85, 0x3f3d2fb0, v52 :: v_dual_add_f32 v12, v14, v50
	v_fma_f32 v50, 0xbf1a4643, v85, -v201
	s_delay_alu instid0(VALU_DEP_2) | instskip(SKIP_2) | instid1(VALU_DEP_3)
	v_dual_add_f32 v48, v53, v51 :: v_dual_mul_f32 v51, 0xbf7ee86f, v176
	v_fma_f32 v53, 0x3dbcf732, v92, -v204
	v_fmac_f32_e32 v205, 0x3f65296c, v83
	v_dual_add_f32 v29, v49, v48 :: v_dual_fmamk_f32 v48, v88, 0x3dbcf732, v51
	v_mul_f32_e32 v49, 0xbe3c28d5, v181
	v_fmac_f32_e32 v211, 0xbf7ee86f, v77
	s_delay_alu instid0(VALU_DEP_3) | instskip(SKIP_1) | instid1(VALU_DEP_4)
	v_add_f32_e32 v14, v48, v29
	v_mul_f32_e32 v48, 0xbf06c442, v180
	v_fmamk_f32 v7, v91, 0xbf7ba420, v49
	v_fma_f32 v29, 0xbf59a7d5, v90, -v208
	s_delay_alu instid0(VALU_DEP_4) | instskip(NEXT) | instid1(VALU_DEP_4)
	v_add_f32_e32 v14, v28, v14
	v_fmamk_f32 v8, v92, 0xbf59a7d5, v48
	v_fma_f32 v28, 0xbf7ba420, v85, -v188
	v_fmac_f32_e32 v207, 0xbeb8f4ab, v82
	v_fmac_f32_e32 v216, 0x3f06c442, v80
	v_add_f32_e32 v10, v15, v14
	v_fma_f32 v15, 0xbf59a7d5, v85, -v166
	v_fmac_f32_e32 v209, 0xbf2c7751, v78
	s_delay_alu instid0(VALU_DEP_3) | instskip(SKIP_2) | instid1(VALU_DEP_3)
	v_add_f32_e32 v6, v8, v10
	v_fma_f32 v8, 0xbf7ba420, v90, -v149
	v_fma_f32 v10, 0xbe8c1d8e, v85, -v141
	v_dual_add_f32 v11, v7, v6 :: v_dual_add_f32 v6, v45, v123
	v_fma_f32 v7, 0x3ee437d1, v85, -v128
	s_delay_alu instid0(VALU_DEP_2) | instskip(NEXT) | instid1(VALU_DEP_2)
	v_add_f32_e32 v6, v109, v6
	v_add_f32_e32 v2, v7, v2
	v_fma_f32 v7, 0x3dbcf732, v87, -v129
	v_fma_f32 v31, 0xbe8c1d8e, v89, -v31
	v_fmac_f32_e32 v218, 0x3f763a35, v81
	v_add_f32_e32 v6, v110, v6
	s_delay_alu instid0(VALU_DEP_4) | instskip(SKIP_1) | instid1(VALU_DEP_3)
	v_add_f32_e32 v2, v7, v2
	v_fma_f32 v7, 0xbf1a4643, v88, -v132
	v_add_f32_e32 v6, v114, v6
	s_delay_alu instid0(VALU_DEP_2) | instskip(SKIP_1) | instid1(VALU_DEP_3)
	v_add_f32_e32 v2, v7, v2
	v_fma_f32 v7, 0x3f6eb680, v89, -v148
	v_add_f32_e32 v6, v115, v6
	s_delay_alu instid0(VALU_DEP_2) | instskip(NEXT) | instid1(VALU_DEP_2)
	v_add_f32_e32 v7, v7, v2
	v_add_f32_e32 v6, v121, v6
	;; [unrolled: 1-line block ×3, first 2 shown]
	s_delay_alu instid0(VALU_DEP_2) | instskip(NEXT) | instid1(VALU_DEP_4)
	v_add_f32_e32 v4, v116, v6
	v_add_f32_e32 v6, v8, v7
	v_fma_f32 v7, 0x3f3d2fb0, v92, -v137
	v_add_f32_e32 v8, v45, v125
	v_fma_f32 v49, 0xbf7ba420, v91, -v49
	v_add_f32_e32 v5, v117, v4
	v_fma_f32 v4, 0xbf1a4643, v84, -v139
	v_add_f32_e32 v6, v7, v6
	v_fma_f32 v7, 0xbe8c1d8e, v91, -v124
	v_add_f32_e32 v8, v122, v8
	v_add_f32_e32 v1, v58, v1
	s_delay_alu instid0(VALU_DEP_3) | instskip(NEXT) | instid1(VALU_DEP_3)
	v_dual_add_f32 v9, v44, v4 :: v_dual_add_f32 v4, v7, v6
	v_add_f32_e32 v6, v111, v8
	v_fma_f32 v8, 0x3f6eb680, v87, -v130
	s_delay_alu instid0(VALU_DEP_3) | instskip(SKIP_1) | instid1(VALU_DEP_4)
	v_add_f32_e32 v7, v10, v9
	v_fma_f32 v10, 0xbf7ba420, v92, -v144
	v_dual_add_f32 v9, v45, v159 :: v_dual_add_f32 v6, v112, v6
	s_delay_alu instid0(VALU_DEP_3) | instskip(SKIP_1) | instid1(VALU_DEP_3)
	v_add_f32_e32 v7, v8, v7
	v_fma_f32 v8, 0xbf59a7d5, v88, -v131
	v_dual_add_f32 v9, v160, v9 :: v_dual_add_f32 v6, v113, v6
	s_delay_alu instid0(VALU_DEP_2) | instskip(SKIP_1) | instid1(VALU_DEP_1)
	v_add_f32_e32 v7, v8, v7
	v_fma_f32 v8, 0x3dbcf732, v89, -v142
	v_dual_add_f32 v6, v118, v6 :: v_dual_add_f32 v7, v8, v7
	v_fma_f32 v8, 0x3f3d2fb0, v90, -v143
	s_delay_alu instid0(VALU_DEP_2) | instskip(NEXT) | instid1(VALU_DEP_2)
	v_add_f32_e32 v6, v119, v6
	v_add_f32_e32 v8, v8, v7
	s_delay_alu instid0(VALU_DEP_2) | instskip(SKIP_1) | instid1(VALU_DEP_3)
	v_add_f32_e32 v7, v120, v6
	v_fma_f32 v6, 0xbe8c1d8e, v84, -v164
	v_add_f32_e32 v8, v10, v8
	v_fma_f32 v10, 0x3ee437d1, v91, -v133
	s_delay_alu instid0(VALU_DEP_3) | instskip(NEXT) | instid1(VALU_DEP_2)
	v_add_f32_e32 v14, v44, v6
	v_add_f32_e32 v6, v10, v8
	s_delay_alu instid0(VALU_DEP_2) | instskip(SKIP_3) | instid1(VALU_DEP_3)
	v_add_f32_e32 v10, v15, v14
	v_fma_f32 v14, 0x3f3d2fb0, v87, -v147
	v_fmac_f32_e32 v161, 0x3f2c7751, v79
	v_add_f32_e32 v15, v45, v178
	v_add_f32_e32 v10, v14, v10
	v_fma_f32 v14, 0x3ee437d1, v88, -v126
	s_delay_alu instid0(VALU_DEP_4) | instskip(NEXT) | instid1(VALU_DEP_4)
	v_add_f32_e32 v9, v161, v9
	v_add_f32_e32 v15, v150, v15
	s_delay_alu instid0(VALU_DEP_3) | instskip(SKIP_1) | instid1(VALU_DEP_4)
	v_add_f32_e32 v10, v14, v10
	v_fma_f32 v14, 0xbf7ba420, v89, -v135
	v_add_f32_e32 v9, v162, v9
	s_delay_alu instid0(VALU_DEP_2) | instskip(SKIP_1) | instid1(VALU_DEP_1)
	v_add_f32_e32 v10, v14, v10
	v_fma_f32 v14, 0x3dbcf732, v90, -v136
	v_dual_fmac_f32 v163, 0xbe3c28d5, v80 :: v_dual_add_f32 v10, v14, v10
	s_delay_alu instid0(VALU_DEP_1) | instskip(SKIP_1) | instid1(VALU_DEP_1)
	v_add_f32_e32 v9, v163, v9
	v_fma_f32 v14, 0x3f6eb680, v92, -v138
	v_dual_fmac_f32 v165, 0x3f7ee86f, v81 :: v_dual_add_f32 v10, v14, v10
	s_delay_alu instid0(VALU_DEP_1) | instskip(SKIP_1) | instid1(VALU_DEP_2)
	v_add_f32_e32 v9, v165, v9
	v_fma_f32 v14, 0xbf1a4643, v91, -v140
	v_add_f32_e32 v8, v145, v9
	s_delay_alu instid0(VALU_DEP_1) | instskip(SKIP_1) | instid1(VALU_DEP_1)
	v_add_f32_e32 v9, v146, v8
	v_fma_f32 v8, 0x3dbcf732, v84, -v187
	v_add_f32_e32 v8, v44, v8
	s_delay_alu instid0(VALU_DEP_1) | instskip(SKIP_1) | instid1(VALU_DEP_1)
	v_add_f32_e32 v8, v28, v8
	v_fma_f32 v28, 0xbe8c1d8e, v87, -v191
	v_add_f32_e32 v8, v28, v8
	v_fma_f32 v28, 0x3f6eb680, v88, -v195
	s_delay_alu instid0(VALU_DEP_1) | instskip(SKIP_1) | instid1(VALU_DEP_1)
	v_add_f32_e32 v8, v28, v8
	v_fma_f32 v28, 0x3ee437d1, v89, -v206
	v_dual_add_f32 v28, v28, v8 :: v_dual_fmac_f32 v151, 0x3f763a35, v79
	v_add_f32_e32 v8, v14, v10
	s_delay_alu instid0(VALU_DEP_2) | instskip(SKIP_3) | instid1(VALU_DEP_3)
	v_add_f32_e32 v14, v29, v28
	v_add_f32_e32 v29, v45, v186
	v_fma_f32 v28, 0xbf1a4643, v92, -v199
	v_add_f32_e32 v15, v151, v15
	v_add_f32_e32 v29, v175, v29
	v_fmac_f32_e32 v167, 0x3f4c4adb, v83
	s_delay_alu instid0(VALU_DEP_4) | instskip(SKIP_1) | instid1(VALU_DEP_1)
	v_dual_fmac_f32 v155, 0x3eb8f4ab, v77 :: v_dual_add_f32 v14, v28, v14
	v_fma_f32 v28, 0x3f3d2fb0, v91, -v183
	v_dual_add_f32 v15, v155, v15 :: v_dual_add_f32 v14, v28, v14
	v_add_f32_e32 v28, v152, v29
	v_fma_f32 v29, 0xbf7ba420, v87, -v192
	s_delay_alu instid0(VALU_DEP_3) | instskip(SKIP_1) | instid1(VALU_DEP_2)
	v_add_f32_e32 v15, v158, v15
	v_fmac_f32_e32 v153, 0x3f763a35, v77
	v_add_f32_e32 v15, v174, v15
	s_delay_alu instid0(VALU_DEP_1) | instskip(NEXT) | instid1(VALU_DEP_1)
	v_add_f32_e32 v10, v167, v15
	v_add_f32_e32 v15, v168, v10
	v_fma_f32 v10, 0x3ee437d1, v84, -v200
	s_delay_alu instid0(VALU_DEP_1) | instskip(NEXT) | instid1(VALU_DEP_1)
	v_add_f32_e32 v10, v44, v10
	v_add_f32_e32 v10, v50, v10
	v_add_f32_e32 v50, v45, v212
	v_dual_add_f32 v45, v45, v207 :: v_dual_fmac_f32 v172, 0xbf06c442, v86
	s_delay_alu instid0(VALU_DEP_3) | instskip(SKIP_1) | instid1(VALU_DEP_3)
	v_add_f32_e32 v10, v29, v10
	v_add_f32_e32 v28, v153, v28
	;; [unrolled: 1-line block ×3, first 2 shown]
	v_fmac_f32_e32 v213, 0xbf7ee86f, v78
	v_fma_f32 v29, 0xbe8c1d8e, v88, -v193
	s_delay_alu instid0(VALU_DEP_4) | instskip(NEXT) | instid1(VALU_DEP_3)
	v_add_f32_e32 v28, v154, v28
	v_dual_add_f32 v45, v210, v45 :: v_dual_add_f32 v50, v213, v50
	s_delay_alu instid0(VALU_DEP_3) | instskip(SKIP_1) | instid1(VALU_DEP_3)
	v_add_f32_e32 v10, v29, v10
	v_fma_f32 v29, 0x3f3d2fb0, v89, -v202
	v_dual_add_f32 v28, v170, v28 :: v_dual_add_f32 v45, v211, v45
	s_delay_alu instid0(VALU_DEP_2) | instskip(NEXT) | instid1(VALU_DEP_2)
	v_add_f32_e32 v10, v29, v10
	v_add_f32_e32 v28, v171, v28
	v_fmac_f32_e32 v214, 0xbf4c4adb, v79
	v_fma_f32 v29, 0x3f6eb680, v90, -v203
	s_delay_alu instid0(VALU_DEP_1) | instskip(NEXT) | instid1(VALU_DEP_3)
	v_dual_add_f32 v45, v190, v45 :: v_dual_add_f32 v10, v29, v10
	v_dual_add_f32 v29, v172, v28 :: v_dual_add_f32 v50, v214, v50
	v_fma_f32 v28, 0x3f3d2fb0, v84, -v217
	s_delay_alu instid0(VALU_DEP_3) | instskip(SKIP_2) | instid1(VALU_DEP_4)
	v_dual_add_f32 v45, v47, v45 :: v_dual_add_f32 v10, v53, v10
	v_fma_f32 v53, 0xbf59a7d5, v91, -v197
	v_fma_f32 v47, 0x3f6eb680, v91, -v189
	v_dual_add_f32 v55, v44, v28 :: v_dual_add_f32 v50, v215, v50
	s_delay_alu instid0(VALU_DEP_3) | instskip(NEXT) | instid1(VALU_DEP_2)
	v_dual_add_f32 v45, v46, v45 :: v_dual_add_f32 v28, v53, v10
	v_dual_add_f32 v53, v57, v55 :: v_dual_add_f32 v50, v216, v50
	v_fma_f32 v55, 0xbf1a4643, v87, -v184
	s_delay_alu instid0(VALU_DEP_2) | instskip(NEXT) | instid1(VALU_DEP_1)
	v_dual_add_f32 v45, v13, v45 :: v_dual_add_f32 v50, v218, v50
	v_add_f32_e32 v10, v205, v50
	v_fma_f32 v50, 0x3f6eb680, v84, -v156
	s_delay_alu instid0(VALU_DEP_1) | instskip(SKIP_3) | instid1(VALU_DEP_3)
	v_add_f32_e32 v44, v44, v50
	v_fma_f32 v50, 0x3f3d2fb0, v85, -v52
	v_add_f32_e32 v52, v55, v53
	v_fma_f32 v53, 0xbf7ba420, v88, -v185
	;; [unrolled: 2-line block ×3, first 2 shown]
	s_delay_alu instid0(VALU_DEP_3) | instskip(SKIP_1) | instid1(VALU_DEP_3)
	v_add_f32_e32 v52, v53, v52
	v_fma_f32 v53, 0xbf59a7d5, v89, -v198
	v_add_f32_e32 v44, v50, v44
	v_fma_f32 v50, 0x3dbcf732, v88, -v51
	s_delay_alu instid0(VALU_DEP_3) | instskip(SKIP_1) | instid1(VALU_DEP_3)
	v_add_f32_e32 v51, v53, v52
	v_fma_f32 v52, 0xbe8c1d8e, v90, -v196
	v_add_f32_e32 v44, v50, v44
	s_delay_alu instid0(VALU_DEP_2) | instskip(SKIP_1) | instid1(VALU_DEP_3)
	v_add_f32_e32 v50, v52, v51
	v_fma_f32 v51, 0x3ee437d1, v92, -v194
	v_add_f32_e32 v31, v31, v44
	s_delay_alu instid0(VALU_DEP_2) | instskip(NEXT) | instid1(VALU_DEP_2)
	v_add_f32_e32 v44, v51, v50
	v_add_f32_e32 v30, v30, v31
	v_fma_f32 v31, 0xbf59a7d5, v92, -v48
	v_and_b32_e32 v48, 0xffff, v75
	s_delay_alu instid0(VALU_DEP_2) | instskip(NEXT) | instid1(VALU_DEP_2)
	v_add_f32_e32 v46, v31, v30
	v_dual_add_f32 v31, v134, v10 :: v_dual_lshlrev_b32 v48, 3, v48
	v_add_f32_e32 v30, v47, v44
	s_delay_alu instid0(VALU_DEP_3)
	v_add_f32_e32 v44, v49, v46
	ds_store_2addr_b64 v48, v[0:1], v[11:12] offset1:1
	ds_store_2addr_b64 v48, v[71:72], v[69:70] offset0:2 offset1:3
	ds_store_2addr_b64 v48, v[67:68], v[65:66] offset0:4 offset1:5
	;; [unrolled: 1-line block ×7, first 2 shown]
	ds_store_b64 v48, v[44:45] offset:128
.LBB0_13:
	s_wait_alu 0xfffe
	s_or_b32 exec_lo, exec_lo, s4
	global_wb scope:SCOPE_SE
	s_wait_dscnt 0x0
	s_barrier_signal -1
	s_barrier_wait -1
	global_inv scope:SCOPE_SE
	ds_load_2addr_b64 v[1:4], v73 offset1:119
	v_add_nc_u32_e32 v0, 0x400, v73
	v_add_nc_u32_e32 v15, 0xc00, v73
	ds_load_b64 v[13:14], v73 offset:5712
	s_wait_dscnt 0x1
	v_mul_f32_e32 v28, v25, v4
	v_mul_f32_e32 v25, v25, v3
	ds_load_2addr_b64 v[5:8], v0 offset0:110 offset1:229
	ds_load_2addr_b64 v[9:12], v15 offset0:92 offset1:211
	s_wait_dscnt 0x2
	v_mul_f32_e32 v29, v19, v14
	v_dual_mul_f32 v19, v19, v13 :: v_dual_fmac_f32 v28, v24, v3
	v_fma_f32 v3, v24, v4, -v25
	global_wb scope:SCOPE_SE
	s_wait_dscnt 0x0
	s_barrier_signal -1
	s_barrier_wait -1
	global_inv scope:SCOPE_SE
	v_dual_mul_f32 v4, v27, v6 :: v_dual_mul_f32 v25, v21, v8
	v_mul_f32_e32 v30, v17, v12
	v_dual_mul_f32 v24, v27, v5 :: v_dual_mul_f32 v21, v21, v7
	s_delay_alu instid0(VALU_DEP_3) | instskip(NEXT) | instid1(VALU_DEP_3)
	v_dual_mul_f32 v27, v23, v10 :: v_dual_fmac_f32 v4, v26, v5
	v_dual_mul_f32 v23, v23, v9 :: v_dual_fmac_f32 v30, v16, v11
	v_fmac_f32_e32 v29, v18, v13
	v_fma_f32 v13, v18, v14, -v19
	v_mul_f32_e32 v17, v17, v11
	v_fma_f32 v5, v26, v6, -v24
	v_fma_f32 v6, v20, v8, -v21
	v_fmac_f32_e32 v25, v20, v7
	v_fma_f32 v7, v22, v10, -v23
	v_add_f32_e32 v10, v3, v13
	v_fma_f32 v8, v16, v12, -v17
	v_dual_fmac_f32 v27, v22, v9 :: v_dual_add_f32 v12, v4, v30
	v_sub_f32_e32 v4, v4, v30
	v_dual_sub_f32 v11, v28, v29 :: v_dual_add_f32 v14, v6, v7
	v_sub_f32_e32 v3, v3, v13
	v_dual_sub_f32 v6, v7, v6 :: v_dual_add_f32 v9, v28, v29
	v_dual_add_f32 v13, v5, v8 :: v_dual_sub_f32 v16, v27, v25
	v_sub_f32_e32 v5, v5, v8
	v_add_f32_e32 v8, v25, v27
	s_delay_alu instid0(VALU_DEP_4)
	v_sub_f32_e32 v18, v12, v9
	v_add_f32_e32 v7, v12, v9
	v_add_f32_e32 v17, v13, v10
	v_dual_sub_f32 v19, v13, v10 :: v_dual_add_f32 v20, v16, v4
	v_dual_sub_f32 v10, v10, v14 :: v_dual_sub_f32 v9, v9, v8
	v_dual_sub_f32 v12, v8, v12 :: v_dual_sub_f32 v13, v14, v13
	v_sub_f32_e32 v22, v16, v4
	v_dual_sub_f32 v16, v11, v16 :: v_dual_add_f32 v7, v8, v7
	v_add_f32_e32 v8, v14, v17
	v_dual_add_f32 v21, v6, v5 :: v_dual_sub_f32 v4, v4, v11
	v_dual_sub_f32 v23, v6, v5 :: v_dual_mul_f32 v10, 0x3f4a47b2, v10
	s_delay_alu instid0(VALU_DEP_3)
	v_dual_sub_f32 v5, v5, v3 :: v_dual_add_f32 v2, v2, v8
	v_dual_add_f32 v1, v1, v7 :: v_dual_sub_f32 v6, v3, v6
	v_dual_add_f32 v11, v20, v11 :: v_dual_mul_f32 v14, 0x3d64c772, v12
	v_dual_add_f32 v3, v21, v3 :: v_dual_mul_f32 v20, 0x3f08b237, v22
	v_mul_f32_e32 v17, 0x3d64c772, v13
	v_mul_f32_e32 v22, 0xbf5ff5aa, v4
	v_dual_fmamk_f32 v7, v7, 0xbf955555, v1 :: v_dual_fmamk_f32 v8, v8, 0xbf955555, v2
	v_fmamk_f32 v13, v13, 0x3d64c772, v10
	v_mul_f32_e32 v9, 0x3f4a47b2, v9
	v_fma_f32 v14, 0x3f3bfb3b, v18, -v14
	v_fma_f32 v10, 0xbf3bfb3b, v19, -v10
	s_delay_alu instid0(VALU_DEP_4) | instskip(NEXT) | instid1(VALU_DEP_4)
	v_add_f32_e32 v24, v13, v8
	v_fmamk_f32 v12, v12, 0x3d64c772, v9
	v_fma_f32 v17, 0x3f3bfb3b, v19, -v17
	v_fma_f32 v9, 0xbf3bfb3b, v18, -v9
	v_fmamk_f32 v18, v16, 0xbeae86e6, v20
	v_fma_f32 v20, 0xbf5ff5aa, v4, -v20
	v_fma_f32 v16, 0x3eae86e6, v16, -v22
	v_add_f32_e32 v13, v17, v8
	s_delay_alu instid0(VALU_DEP_4) | instskip(NEXT) | instid1(VALU_DEP_4)
	v_dual_add_f32 v17, v10, v8 :: v_dual_fmac_f32 v18, 0xbee1c552, v11
	v_fmac_f32_e32 v20, 0xbee1c552, v11
	v_mul_f32_e32 v21, 0x3f08b237, v23
	v_mul_f32_e32 v23, 0xbf5ff5aa, v5
	v_fmac_f32_e32 v16, 0xbee1c552, v11
	v_sub_f32_e32 v4, v24, v18
	s_delay_alu instid0(VALU_DEP_4)
	v_dual_sub_f32 v10, v13, v20 :: v_dual_fmamk_f32 v19, v6, 0xbeae86e6, v21
	v_fma_f32 v21, 0xbf5ff5aa, v5, -v21
	v_fma_f32 v22, 0x3eae86e6, v6, -v23
	v_add_f32_e32 v23, v12, v7
	v_add_f32_e32 v12, v14, v7
	v_dual_fmac_f32 v19, 0xbee1c552, v3 :: v_dual_add_f32 v8, v20, v13
	v_fmac_f32_e32 v21, 0xbee1c552, v3
	v_add_f32_e32 v14, v9, v7
	s_delay_alu instid0(VALU_DEP_2) | instskip(SKIP_1) | instid1(VALU_DEP_2)
	v_dual_fmac_f32 v22, 0xbee1c552, v3 :: v_dual_add_f32 v9, v21, v12
	v_sub_f32_e32 v7, v12, v21
	v_dual_add_f32 v5, v22, v14 :: v_dual_sub_f32 v6, v17, v16
	v_add_f32_e32 v3, v19, v23
	v_dual_sub_f32 v11, v14, v22 :: v_dual_add_f32 v12, v16, v17
	v_dual_sub_f32 v13, v23, v19 :: v_dual_add_f32 v14, v18, v24
	ds_store_2addr_b64 v76, v[1:2], v[3:4] offset1:17
	ds_store_2addr_b64 v76, v[5:6], v[7:8] offset0:34 offset1:51
	ds_store_2addr_b64 v76, v[9:10], v[11:12] offset0:68 offset1:85
	ds_store_b64 v76, v[13:14] offset:816
	global_wb scope:SCOPE_SE
	s_wait_dscnt 0x0
	s_barrier_signal -1
	s_barrier_wait -1
	global_inv scope:SCOPE_SE
	ds_load_2addr_b64 v[1:4], v73 offset1:119
	ds_load_2addr_b64 v[5:8], v0 offset0:110 offset1:229
	ds_load_2addr_b64 v[9:12], v15 offset0:92 offset1:211
	ds_load_b64 v[13:14], v73 offset:5712
	s_wait_dscnt 0x3
	v_mul_f32_e32 v16, v41, v4
	s_wait_dscnt 0x2
	v_mul_f32_e32 v18, v37, v8
	v_mul_f32_e32 v17, v41, v3
	s_wait_dscnt 0x1
	v_dual_mul_f32 v19, v37, v7 :: v_dual_mul_f32 v20, v39, v10
	v_fmac_f32_e32 v16, v40, v3
	v_fmac_f32_e32 v18, v36, v7
	v_fma_f32 v3, v40, v4, -v17
	v_mul_f32_e32 v4, v43, v6
	v_mul_f32_e32 v17, v43, v5
	s_wait_dscnt 0x0
	v_dual_fmac_f32 v20, v38, v9 :: v_dual_mul_f32 v7, v35, v14
	v_mul_f32_e32 v9, v39, v9
	v_fmac_f32_e32 v4, v42, v5
	v_fma_f32 v5, v42, v6, -v17
	v_fma_f32 v6, v36, v8, -v19
	v_dual_mul_f32 v8, v35, v13 :: v_dual_mul_f32 v19, v33, v11
	v_mul_f32_e32 v17, v33, v12
	v_fma_f32 v9, v38, v10, -v9
	s_delay_alu instid0(VALU_DEP_3) | instskip(SKIP_1) | instid1(VALU_DEP_4)
	v_fma_f32 v8, v34, v14, -v8
	v_fmac_f32_e32 v7, v34, v13
	v_fmac_f32_e32 v17, v32, v11
	v_fma_f32 v10, v32, v12, -v19
	v_add_f32_e32 v14, v6, v9
	s_delay_alu instid0(VALU_DEP_4) | instskip(SKIP_1) | instid1(VALU_DEP_4)
	v_dual_add_f32 v12, v3, v8 :: v_dual_add_f32 v11, v16, v7
	v_dual_sub_f32 v7, v16, v7 :: v_dual_sub_f32 v6, v9, v6
	v_add_f32_e32 v13, v5, v10
	v_dual_sub_f32 v5, v5, v10 :: v_dual_add_f32 v10, v18, v20
	v_dual_sub_f32 v3, v3, v8 :: v_dual_add_f32 v8, v4, v17
	v_sub_f32_e32 v4, v4, v17
	s_delay_alu instid0(VALU_DEP_4) | instskip(SKIP_1) | instid1(VALU_DEP_4)
	v_dual_sub_f32 v16, v20, v18 :: v_dual_add_f32 v17, v13, v12
	v_dual_sub_f32 v19, v13, v12 :: v_dual_sub_f32 v12, v12, v14
	v_add_f32_e32 v9, v8, v11
	v_sub_f32_e32 v18, v8, v11
	v_dual_sub_f32 v8, v10, v8 :: v_dual_sub_f32 v11, v11, v10
	v_dual_add_f32 v20, v16, v4 :: v_dual_sub_f32 v13, v14, v13
	v_dual_sub_f32 v22, v16, v4 :: v_dual_add_f32 v21, v6, v5
	v_sub_f32_e32 v16, v7, v16
	v_dual_sub_f32 v4, v4, v7 :: v_dual_add_f32 v9, v10, v9
	v_add_f32_e32 v10, v14, v17
	v_dual_sub_f32 v23, v6, v5 :: v_dual_sub_f32 v6, v3, v6
	v_sub_f32_e32 v5, v5, v3
	s_delay_alu instid0(VALU_DEP_3) | instskip(SKIP_3) | instid1(VALU_DEP_4)
	v_dual_add_f32 v7, v20, v7 :: v_dual_add_f32 v2, v2, v10
	v_dual_add_f32 v3, v21, v3 :: v_dual_mul_f32 v12, 0x3f4a47b2, v12
	v_dual_add_f32 v1, v1, v9 :: v_dual_mul_f32 v14, 0x3d64c772, v8
	v_mul_f32_e32 v17, 0x3d64c772, v13
	v_fmamk_f32 v10, v10, 0xbf955555, v2
	s_delay_alu instid0(VALU_DEP_4) | instskip(NEXT) | instid1(VALU_DEP_4)
	v_fmamk_f32 v13, v13, 0x3d64c772, v12
	v_fmamk_f32 v9, v9, 0xbf955555, v1
	v_fma_f32 v12, 0xbf3bfb3b, v19, -v12
	v_dual_mul_f32 v20, 0x3f08b237, v22 :: v_dual_mul_f32 v21, 0x3f08b237, v23
	v_dual_mul_f32 v22, 0xbf5ff5aa, v4 :: v_dual_mul_f32 v23, 0xbf5ff5aa, v5
	s_delay_alu instid0(VALU_DEP_3) | instskip(SKIP_2) | instid1(VALU_DEP_3)
	v_dual_add_f32 v12, v12, v10 :: v_dual_mul_f32 v11, 0x3f4a47b2, v11
	v_add_f32_e32 v24, v13, v10
	v_fma_f32 v14, 0x3f3bfb3b, v18, -v14
	v_fmamk_f32 v8, v8, 0x3d64c772, v11
	v_fma_f32 v17, 0x3f3bfb3b, v19, -v17
	v_fma_f32 v11, 0xbf3bfb3b, v18, -v11
	v_dual_fmamk_f32 v18, v16, 0xbeae86e6, v20 :: v_dual_fmamk_f32 v19, v6, 0xbeae86e6, v21
	v_fma_f32 v21, 0xbf5ff5aa, v5, -v21
	v_fma_f32 v16, 0x3eae86e6, v16, -v22
	;; [unrolled: 1-line block ×4, first 2 shown]
	v_dual_add_f32 v13, v14, v9 :: v_dual_fmac_f32 v18, 0xbee1c552, v7
	v_fmac_f32_e32 v21, 0xbee1c552, v3
	v_dual_fmac_f32 v16, 0xbee1c552, v7 :: v_dual_add_f32 v23, v8, v9
	v_dual_add_f32 v14, v17, v10 :: v_dual_fmac_f32 v19, 0xbee1c552, v3
	s_delay_alu instid0(VALU_DEP_4) | instskip(NEXT) | instid1(VALU_DEP_4)
	v_dual_sub_f32 v4, v24, v18 :: v_dual_add_f32 v11, v11, v9
	v_dual_fmac_f32 v20, 0xbee1c552, v7 :: v_dual_add_f32 v9, v21, v13
	s_delay_alu instid0(VALU_DEP_4) | instskip(SKIP_1) | instid1(VALU_DEP_3)
	v_sub_f32_e32 v6, v12, v16
	v_dual_fmac_f32 v22, 0xbee1c552, v3 :: v_dual_sub_f32 v7, v13, v21
	v_dual_add_f32 v3, v19, v23 :: v_dual_add_f32 v8, v20, v14
	v_sub_f32_e32 v10, v14, v20
	s_delay_alu instid0(VALU_DEP_3)
	v_dual_add_f32 v5, v22, v11 :: v_dual_add_f32 v12, v16, v12
	v_sub_f32_e32 v11, v11, v22
	v_dual_sub_f32 v13, v23, v19 :: v_dual_add_f32 v14, v18, v24
	ds_store_2addr_b64 v73, v[1:2], v[3:4] offset1:119
	ds_store_2addr_b64 v0, v[5:6], v[7:8] offset0:110 offset1:229
	ds_store_2addr_b64 v15, v[9:10], v[11:12] offset0:92 offset1:211
	ds_store_b64 v73, v[13:14] offset:5712
	global_wb scope:SCOPE_SE
	s_wait_dscnt 0x0
	s_barrier_signal -1
	s_barrier_wait -1
	global_inv scope:SCOPE_SE
	s_and_b32 exec_lo, exec_lo, vcc_lo
	s_cbranch_execz .LBB0_15
; %bb.14:
	global_load_b64 v[1:2], v73, s[8:9]
	ds_load_b64 v[3:4], v73
	v_mad_co_u64_u32 v[7:8], null, s0, v74, 0
	s_mov_b32 s4, 0xca869b81
	s_mov_b32 s5, 0x3f53ab2d
	s_wait_loadcnt_dscnt 0x0
	v_mul_f32_e32 v5, v4, v2
	v_mul_f32_e32 v2, v3, v2
	s_delay_alu instid0(VALU_DEP_2) | instskip(NEXT) | instid1(VALU_DEP_2)
	v_fmac_f32_e32 v5, v3, v1
	v_fma_f32 v3, v1, v4, -v2
	s_delay_alu instid0(VALU_DEP_2) | instskip(NEXT) | instid1(VALU_DEP_2)
	v_cvt_f64_f32_e32 v[1:2], v5
	v_cvt_f64_f32_e32 v[3:4], v3
	v_mad_co_u64_u32 v[5:6], null, s2, v56, 0
	s_wait_alu 0xfffe
	s_delay_alu instid0(VALU_DEP_3) | instskip(NEXT) | instid1(VALU_DEP_3)
	v_mul_f64_e32 v[1:2], s[4:5], v[1:2]
	v_mul_f64_e32 v[3:4], s[4:5], v[3:4]
	s_delay_alu instid0(VALU_DEP_2) | instskip(NEXT) | instid1(VALU_DEP_2)
	v_cvt_f32_f64_e32 v1, v[1:2]
	v_cvt_f32_f64_e32 v2, v[3:4]
	v_dual_mov_b32 v4, v8 :: v_dual_mov_b32 v3, v6
	s_delay_alu instid0(VALU_DEP_1) | instskip(SKIP_2) | instid1(VALU_DEP_2)
	v_mad_co_u64_u32 v[8:9], null, s3, v56, v[3:4]
	v_mad_co_u64_u32 v[3:4], null, s1, v74, v[4:5]
	s_mul_u64 s[0:1], s[0:1], 0x188
	v_mov_b32_e32 v6, v8
	s_delay_alu instid0(VALU_DEP_2) | instskip(NEXT) | instid1(VALU_DEP_2)
	v_mov_b32_e32 v8, v3
	v_lshlrev_b64_e32 v[3:4], 3, v[5:6]
	s_delay_alu instid0(VALU_DEP_2) | instskip(NEXT) | instid1(VALU_DEP_2)
	v_lshlrev_b64_e32 v[5:6], 3, v[7:8]
	v_add_co_u32 v3, vcc_lo, s12, v3
	s_delay_alu instid0(VALU_DEP_3) | instskip(NEXT) | instid1(VALU_DEP_2)
	v_add_co_ci_u32_e32 v4, vcc_lo, s13, v4, vcc_lo
	v_add_co_u32 v5, vcc_lo, v3, v5
	s_wait_alu 0xfffd
	s_delay_alu instid0(VALU_DEP_2)
	v_add_co_ci_u32_e32 v6, vcc_lo, v4, v6, vcc_lo
	global_store_b64 v[5:6], v[1:2], off
	global_load_b64 v[7:8], v73, s[8:9] offset:392
	ds_load_2addr_b64 v[1:4], v73 offset0:49 offset1:98
	s_wait_alu 0xfffe
	v_add_co_u32 v5, vcc_lo, v5, s0
	s_wait_alu 0xfffd
	v_add_co_ci_u32_e32 v6, vcc_lo, s1, v6, vcc_lo
	s_wait_loadcnt_dscnt 0x0
	v_mul_f32_e32 v9, v2, v8
	v_mul_f32_e32 v8, v1, v8
	s_delay_alu instid0(VALU_DEP_2) | instskip(NEXT) | instid1(VALU_DEP_2)
	v_fmac_f32_e32 v9, v1, v7
	v_fma_f32 v7, v7, v2, -v8
	s_delay_alu instid0(VALU_DEP_2) | instskip(NEXT) | instid1(VALU_DEP_2)
	v_cvt_f64_f32_e32 v[1:2], v9
	v_cvt_f64_f32_e32 v[7:8], v7
	s_delay_alu instid0(VALU_DEP_2) | instskip(NEXT) | instid1(VALU_DEP_2)
	v_mul_f64_e32 v[1:2], s[4:5], v[1:2]
	v_mul_f64_e32 v[7:8], s[4:5], v[7:8]
	s_delay_alu instid0(VALU_DEP_2) | instskip(NEXT) | instid1(VALU_DEP_2)
	v_cvt_f32_f64_e32 v1, v[1:2]
	v_cvt_f32_f64_e32 v2, v[7:8]
	global_store_b64 v[5:6], v[1:2], off
	global_load_b64 v[1:2], v73, s[8:9] offset:784
	v_add_co_u32 v5, vcc_lo, v5, s0
	s_wait_alu 0xfffd
	v_add_co_ci_u32_e32 v6, vcc_lo, s1, v6, vcc_lo
	s_wait_loadcnt 0x0
	v_mul_f32_e32 v7, v4, v2
	v_mul_f32_e32 v2, v3, v2
	s_delay_alu instid0(VALU_DEP_2) | instskip(NEXT) | instid1(VALU_DEP_2)
	v_fmac_f32_e32 v7, v3, v1
	v_fma_f32 v3, v1, v4, -v2
	s_delay_alu instid0(VALU_DEP_2) | instskip(NEXT) | instid1(VALU_DEP_2)
	v_cvt_f64_f32_e32 v[1:2], v7
	v_cvt_f64_f32_e32 v[3:4], v3
	s_delay_alu instid0(VALU_DEP_2) | instskip(NEXT) | instid1(VALU_DEP_2)
	v_mul_f64_e32 v[1:2], s[4:5], v[1:2]
	v_mul_f64_e32 v[3:4], s[4:5], v[3:4]
	s_delay_alu instid0(VALU_DEP_2) | instskip(NEXT) | instid1(VALU_DEP_2)
	v_cvt_f32_f64_e32 v1, v[1:2]
	v_cvt_f32_f64_e32 v2, v[3:4]
	global_store_b64 v[5:6], v[1:2], off
	global_load_b64 v[7:8], v73, s[8:9] offset:1176
	ds_load_2addr_b64 v[1:4], v73 offset0:147 offset1:196
	v_add_co_u32 v5, vcc_lo, v5, s0
	s_wait_alu 0xfffd
	v_add_co_ci_u32_e32 v6, vcc_lo, s1, v6, vcc_lo
	s_wait_loadcnt_dscnt 0x0
	v_mul_f32_e32 v9, v2, v8
	v_mul_f32_e32 v8, v1, v8
	s_delay_alu instid0(VALU_DEP_2) | instskip(NEXT) | instid1(VALU_DEP_2)
	v_fmac_f32_e32 v9, v1, v7
	v_fma_f32 v7, v7, v2, -v8
	s_delay_alu instid0(VALU_DEP_2) | instskip(NEXT) | instid1(VALU_DEP_2)
	v_cvt_f64_f32_e32 v[1:2], v9
	v_cvt_f64_f32_e32 v[7:8], v7
	s_delay_alu instid0(VALU_DEP_2) | instskip(NEXT) | instid1(VALU_DEP_2)
	v_mul_f64_e32 v[1:2], s[4:5], v[1:2]
	v_mul_f64_e32 v[7:8], s[4:5], v[7:8]
	s_delay_alu instid0(VALU_DEP_2) | instskip(NEXT) | instid1(VALU_DEP_2)
	v_cvt_f32_f64_e32 v1, v[1:2]
	v_cvt_f32_f64_e32 v2, v[7:8]
	global_store_b64 v[5:6], v[1:2], off
	global_load_b64 v[1:2], v73, s[8:9] offset:1568
	s_wait_loadcnt 0x0
	v_mul_f32_e32 v7, v4, v2
	v_mul_f32_e32 v2, v3, v2
	s_delay_alu instid0(VALU_DEP_2) | instskip(NEXT) | instid1(VALU_DEP_2)
	v_fmac_f32_e32 v7, v3, v1
	v_fma_f32 v3, v1, v4, -v2
	s_delay_alu instid0(VALU_DEP_2) | instskip(NEXT) | instid1(VALU_DEP_2)
	v_cvt_f64_f32_e32 v[1:2], v7
	v_cvt_f64_f32_e32 v[3:4], v3
	s_delay_alu instid0(VALU_DEP_2) | instskip(NEXT) | instid1(VALU_DEP_2)
	v_mul_f64_e32 v[1:2], s[4:5], v[1:2]
	v_mul_f64_e32 v[3:4], s[4:5], v[3:4]
	s_delay_alu instid0(VALU_DEP_2) | instskip(NEXT) | instid1(VALU_DEP_2)
	v_cvt_f32_f64_e32 v1, v[1:2]
	v_cvt_f32_f64_e32 v2, v[3:4]
	v_add_co_u32 v4, vcc_lo, v5, s0
	s_wait_alu 0xfffd
	v_add_co_ci_u32_e32 v5, vcc_lo, s1, v6, vcc_lo
	global_store_b64 v[4:5], v[1:2], off
	global_load_b64 v[6:7], v73, s[8:9] offset:1960
	ds_load_2addr_b64 v[0:3], v0 offset0:117 offset1:166
	v_add_co_u32 v4, vcc_lo, v4, s0
	s_wait_alu 0xfffd
	v_add_co_ci_u32_e32 v5, vcc_lo, s1, v5, vcc_lo
	s_wait_loadcnt_dscnt 0x0
	v_mul_f32_e32 v8, v1, v7
	v_mul_f32_e32 v7, v0, v7
	s_delay_alu instid0(VALU_DEP_2) | instskip(NEXT) | instid1(VALU_DEP_2)
	v_fmac_f32_e32 v8, v0, v6
	v_fma_f32 v6, v6, v1, -v7
	s_delay_alu instid0(VALU_DEP_2) | instskip(SKIP_1) | instid1(VALU_DEP_3)
	v_cvt_f64_f32_e32 v[0:1], v8
	v_add_nc_u32_e32 v8, 0x800, v73
	v_cvt_f64_f32_e32 v[6:7], v6
	s_delay_alu instid0(VALU_DEP_3) | instskip(NEXT) | instid1(VALU_DEP_2)
	v_mul_f64_e32 v[0:1], s[4:5], v[0:1]
	v_mul_f64_e32 v[6:7], s[4:5], v[6:7]
	s_delay_alu instid0(VALU_DEP_2) | instskip(NEXT) | instid1(VALU_DEP_2)
	v_cvt_f32_f64_e32 v0, v[0:1]
	v_cvt_f32_f64_e32 v1, v[6:7]
	global_store_b64 v[4:5], v[0:1], off
	global_load_b64 v[0:1], v73, s[8:9] offset:2352
	v_add_co_u32 v4, vcc_lo, v4, s0
	s_wait_alu 0xfffd
	v_add_co_ci_u32_e32 v5, vcc_lo, s1, v5, vcc_lo
	s_wait_loadcnt 0x0
	v_mul_f32_e32 v6, v3, v1
	v_mul_f32_e32 v1, v2, v1
	s_delay_alu instid0(VALU_DEP_2) | instskip(NEXT) | instid1(VALU_DEP_2)
	v_fmac_f32_e32 v6, v2, v0
	v_fma_f32 v2, v0, v3, -v1
	s_delay_alu instid0(VALU_DEP_2) | instskip(NEXT) | instid1(VALU_DEP_2)
	v_cvt_f64_f32_e32 v[0:1], v6
	v_cvt_f64_f32_e32 v[2:3], v2
	s_delay_alu instid0(VALU_DEP_2) | instskip(NEXT) | instid1(VALU_DEP_2)
	v_mul_f64_e32 v[0:1], s[4:5], v[0:1]
	v_mul_f64_e32 v[2:3], s[4:5], v[2:3]
	s_delay_alu instid0(VALU_DEP_2) | instskip(NEXT) | instid1(VALU_DEP_2)
	v_cvt_f32_f64_e32 v0, v[0:1]
	v_cvt_f32_f64_e32 v1, v[2:3]
	global_store_b64 v[4:5], v[0:1], off
	global_load_b64 v[6:7], v73, s[8:9] offset:2744
	ds_load_2addr_b64 v[0:3], v8 offset0:87 offset1:136
	v_add_co_u32 v4, vcc_lo, v4, s0
	s_wait_alu 0xfffd
	v_add_co_ci_u32_e32 v5, vcc_lo, s1, v5, vcc_lo
	s_wait_loadcnt_dscnt 0x0
	v_mul_f32_e32 v9, v1, v7
	v_mul_f32_e32 v7, v0, v7
	s_delay_alu instid0(VALU_DEP_2) | instskip(NEXT) | instid1(VALU_DEP_2)
	v_fmac_f32_e32 v9, v0, v6
	v_fma_f32 v6, v6, v1, -v7
	s_delay_alu instid0(VALU_DEP_2) | instskip(NEXT) | instid1(VALU_DEP_2)
	v_cvt_f64_f32_e32 v[0:1], v9
	v_cvt_f64_f32_e32 v[6:7], v6
	s_delay_alu instid0(VALU_DEP_2) | instskip(NEXT) | instid1(VALU_DEP_2)
	v_mul_f64_e32 v[0:1], s[4:5], v[0:1]
	v_mul_f64_e32 v[6:7], s[4:5], v[6:7]
	s_delay_alu instid0(VALU_DEP_2) | instskip(NEXT) | instid1(VALU_DEP_2)
	v_cvt_f32_f64_e32 v0, v[0:1]
	v_cvt_f32_f64_e32 v1, v[6:7]
	global_store_b64 v[4:5], v[0:1], off
	global_load_b64 v[0:1], v73, s[8:9] offset:3136
	v_add_co_u32 v4, vcc_lo, v4, s0
	s_wait_alu 0xfffd
	v_add_co_ci_u32_e32 v5, vcc_lo, s1, v5, vcc_lo
	s_wait_loadcnt 0x0
	v_mul_f32_e32 v6, v3, v1
	v_mul_f32_e32 v1, v2, v1
	s_delay_alu instid0(VALU_DEP_2) | instskip(NEXT) | instid1(VALU_DEP_2)
	v_fmac_f32_e32 v6, v2, v0
	v_fma_f32 v2, v0, v3, -v1
	s_delay_alu instid0(VALU_DEP_2) | instskip(NEXT) | instid1(VALU_DEP_2)
	v_cvt_f64_f32_e32 v[0:1], v6
	v_cvt_f64_f32_e32 v[2:3], v2
	s_delay_alu instid0(VALU_DEP_2) | instskip(NEXT) | instid1(VALU_DEP_2)
	v_mul_f64_e32 v[0:1], s[4:5], v[0:1]
	v_mul_f64_e32 v[2:3], s[4:5], v[2:3]
	s_delay_alu instid0(VALU_DEP_2) | instskip(NEXT) | instid1(VALU_DEP_2)
	v_cvt_f32_f64_e32 v0, v[0:1]
	v_cvt_f32_f64_e32 v1, v[2:3]
	global_store_b64 v[4:5], v[0:1], off
	global_load_b64 v[6:7], v73, s[8:9] offset:3528
	ds_load_2addr_b64 v[0:3], v8 offset0:185 offset1:234
	v_add_co_u32 v4, vcc_lo, v4, s0
	s_wait_alu 0xfffd
	v_add_co_ci_u32_e32 v5, vcc_lo, s1, v5, vcc_lo
	s_wait_loadcnt_dscnt 0x0
	v_mul_f32_e32 v8, v1, v7
	v_mul_f32_e32 v7, v0, v7
	s_delay_alu instid0(VALU_DEP_2) | instskip(NEXT) | instid1(VALU_DEP_2)
	v_fmac_f32_e32 v8, v0, v6
	v_fma_f32 v6, v6, v1, -v7
	s_delay_alu instid0(VALU_DEP_2) | instskip(NEXT) | instid1(VALU_DEP_2)
	v_cvt_f64_f32_e32 v[0:1], v8
	v_cvt_f64_f32_e32 v[6:7], v6
	s_delay_alu instid0(VALU_DEP_2) | instskip(NEXT) | instid1(VALU_DEP_2)
	v_mul_f64_e32 v[0:1], s[4:5], v[0:1]
	v_mul_f64_e32 v[6:7], s[4:5], v[6:7]
	s_delay_alu instid0(VALU_DEP_2) | instskip(NEXT) | instid1(VALU_DEP_2)
	v_cvt_f32_f64_e32 v0, v[0:1]
	v_cvt_f32_f64_e32 v1, v[6:7]
	global_store_b64 v[4:5], v[0:1], off
	global_load_b64 v[0:1], v73, s[8:9] offset:3920
	v_add_co_u32 v4, vcc_lo, v4, s0
	s_wait_alu 0xfffd
	v_add_co_ci_u32_e32 v5, vcc_lo, s1, v5, vcc_lo
	s_wait_loadcnt 0x0
	v_mul_f32_e32 v6, v3, v1
	v_mul_f32_e32 v1, v2, v1
	s_delay_alu instid0(VALU_DEP_2) | instskip(NEXT) | instid1(VALU_DEP_2)
	v_fmac_f32_e32 v6, v2, v0
	v_fma_f32 v2, v0, v3, -v1
	s_delay_alu instid0(VALU_DEP_2) | instskip(NEXT) | instid1(VALU_DEP_2)
	v_cvt_f64_f32_e32 v[0:1], v6
	v_cvt_f64_f32_e32 v[2:3], v2
	s_delay_alu instid0(VALU_DEP_2) | instskip(NEXT) | instid1(VALU_DEP_2)
	v_mul_f64_e32 v[0:1], s[4:5], v[0:1]
	v_mul_f64_e32 v[2:3], s[4:5], v[2:3]
	s_delay_alu instid0(VALU_DEP_2) | instskip(NEXT) | instid1(VALU_DEP_2)
	v_cvt_f32_f64_e32 v0, v[0:1]
	v_cvt_f32_f64_e32 v1, v[2:3]
	global_store_b64 v[4:5], v[0:1], off
	global_load_b64 v[6:7], v73, s[8:9] offset:4312
	v_add_nc_u32_e32 v8, 0x1000, v73
	v_add_co_u32 v4, vcc_lo, v4, s0
	s_wait_alu 0xfffd
	v_add_co_ci_u32_e32 v5, vcc_lo, s1, v5, vcc_lo
	ds_load_2addr_b64 v[0:3], v8 offset0:27 offset1:76
	s_wait_loadcnt_dscnt 0x0
	v_mul_f32_e32 v9, v1, v7
	v_mul_f32_e32 v7, v0, v7
	s_delay_alu instid0(VALU_DEP_2) | instskip(NEXT) | instid1(VALU_DEP_2)
	v_fmac_f32_e32 v9, v0, v6
	v_fma_f32 v6, v6, v1, -v7
	s_delay_alu instid0(VALU_DEP_2) | instskip(NEXT) | instid1(VALU_DEP_2)
	v_cvt_f64_f32_e32 v[0:1], v9
	v_cvt_f64_f32_e32 v[6:7], v6
	s_delay_alu instid0(VALU_DEP_2) | instskip(NEXT) | instid1(VALU_DEP_2)
	v_mul_f64_e32 v[0:1], s[4:5], v[0:1]
	v_mul_f64_e32 v[6:7], s[4:5], v[6:7]
	s_delay_alu instid0(VALU_DEP_2) | instskip(NEXT) | instid1(VALU_DEP_2)
	v_cvt_f32_f64_e32 v0, v[0:1]
	v_cvt_f32_f64_e32 v1, v[6:7]
	global_store_b64 v[4:5], v[0:1], off
	global_load_b64 v[0:1], v73, s[8:9] offset:4704
	v_add_co_u32 v4, vcc_lo, v4, s0
	s_wait_alu 0xfffd
	v_add_co_ci_u32_e32 v5, vcc_lo, s1, v5, vcc_lo
	s_wait_loadcnt 0x0
	v_mul_f32_e32 v6, v3, v1
	v_mul_f32_e32 v1, v2, v1
	s_delay_alu instid0(VALU_DEP_2) | instskip(NEXT) | instid1(VALU_DEP_2)
	v_fmac_f32_e32 v6, v2, v0
	v_fma_f32 v2, v0, v3, -v1
	s_delay_alu instid0(VALU_DEP_2) | instskip(NEXT) | instid1(VALU_DEP_2)
	v_cvt_f64_f32_e32 v[0:1], v6
	v_cvt_f64_f32_e32 v[2:3], v2
	s_delay_alu instid0(VALU_DEP_2) | instskip(NEXT) | instid1(VALU_DEP_2)
	v_mul_f64_e32 v[0:1], s[4:5], v[0:1]
	v_mul_f64_e32 v[2:3], s[4:5], v[2:3]
	s_delay_alu instid0(VALU_DEP_2) | instskip(NEXT) | instid1(VALU_DEP_2)
	v_cvt_f32_f64_e32 v0, v[0:1]
	v_cvt_f32_f64_e32 v1, v[2:3]
	global_store_b64 v[4:5], v[0:1], off
	global_load_b64 v[6:7], v73, s[8:9] offset:5096
	ds_load_2addr_b64 v[0:3], v8 offset0:125 offset1:174
	v_add_co_u32 v4, vcc_lo, v4, s0
	s_wait_alu 0xfffd
	v_add_co_ci_u32_e32 v5, vcc_lo, s1, v5, vcc_lo
	s_wait_loadcnt_dscnt 0x0
	v_mul_f32_e32 v8, v1, v7
	v_mul_f32_e32 v7, v0, v7
	s_delay_alu instid0(VALU_DEP_2) | instskip(NEXT) | instid1(VALU_DEP_2)
	v_fmac_f32_e32 v8, v0, v6
	v_fma_f32 v6, v6, v1, -v7
	s_delay_alu instid0(VALU_DEP_2) | instskip(NEXT) | instid1(VALU_DEP_2)
	v_cvt_f64_f32_e32 v[0:1], v8
	v_cvt_f64_f32_e32 v[6:7], v6
	s_delay_alu instid0(VALU_DEP_2) | instskip(NEXT) | instid1(VALU_DEP_2)
	v_mul_f64_e32 v[0:1], s[4:5], v[0:1]
	v_mul_f64_e32 v[6:7], s[4:5], v[6:7]
	s_delay_alu instid0(VALU_DEP_2) | instskip(NEXT) | instid1(VALU_DEP_2)
	v_cvt_f32_f64_e32 v0, v[0:1]
	v_cvt_f32_f64_e32 v1, v[6:7]
	global_store_b64 v[4:5], v[0:1], off
	global_load_b64 v[0:1], v73, s[8:9] offset:5488
	v_add_co_u32 v4, vcc_lo, v4, s0
	s_wait_alu 0xfffd
	v_add_co_ci_u32_e32 v5, vcc_lo, s1, v5, vcc_lo
	s_wait_loadcnt 0x0
	v_mul_f32_e32 v6, v3, v1
	v_mul_f32_e32 v1, v2, v1
	s_delay_alu instid0(VALU_DEP_2) | instskip(NEXT) | instid1(VALU_DEP_2)
	v_fmac_f32_e32 v6, v2, v0
	v_fma_f32 v2, v0, v3, -v1
	s_delay_alu instid0(VALU_DEP_2) | instskip(NEXT) | instid1(VALU_DEP_2)
	v_cvt_f64_f32_e32 v[0:1], v6
	v_cvt_f64_f32_e32 v[2:3], v2
	s_delay_alu instid0(VALU_DEP_2) | instskip(NEXT) | instid1(VALU_DEP_2)
	v_mul_f64_e32 v[0:1], s[4:5], v[0:1]
	v_mul_f64_e32 v[2:3], s[4:5], v[2:3]
	s_delay_alu instid0(VALU_DEP_2) | instskip(NEXT) | instid1(VALU_DEP_2)
	v_cvt_f32_f64_e32 v0, v[0:1]
	v_cvt_f32_f64_e32 v1, v[2:3]
	global_store_b64 v[4:5], v[0:1], off
	global_load_b64 v[6:7], v73, s[8:9] offset:5880
	v_add_nc_u32_e32 v0, 0x1400, v73
	v_add_co_u32 v4, vcc_lo, v4, s0
	s_wait_alu 0xfffd
	v_add_co_ci_u32_e32 v5, vcc_lo, s1, v5, vcc_lo
	ds_load_2addr_b64 v[0:3], v0 offset0:95 offset1:144
	s_wait_loadcnt_dscnt 0x0
	v_mul_f32_e32 v8, v1, v7
	v_mul_f32_e32 v7, v0, v7
	s_delay_alu instid0(VALU_DEP_2) | instskip(NEXT) | instid1(VALU_DEP_2)
	v_fmac_f32_e32 v8, v0, v6
	v_fma_f32 v6, v6, v1, -v7
	s_delay_alu instid0(VALU_DEP_2) | instskip(NEXT) | instid1(VALU_DEP_2)
	v_cvt_f64_f32_e32 v[0:1], v8
	v_cvt_f64_f32_e32 v[6:7], v6
	s_delay_alu instid0(VALU_DEP_2) | instskip(NEXT) | instid1(VALU_DEP_2)
	v_mul_f64_e32 v[0:1], s[4:5], v[0:1]
	v_mul_f64_e32 v[6:7], s[4:5], v[6:7]
	s_delay_alu instid0(VALU_DEP_2) | instskip(NEXT) | instid1(VALU_DEP_2)
	v_cvt_f32_f64_e32 v0, v[0:1]
	v_cvt_f32_f64_e32 v1, v[6:7]
	global_store_b64 v[4:5], v[0:1], off
	global_load_b64 v[0:1], v73, s[8:9] offset:6272
	s_wait_loadcnt 0x0
	v_mul_f32_e32 v6, v3, v1
	v_mul_f32_e32 v1, v2, v1
	s_delay_alu instid0(VALU_DEP_2) | instskip(NEXT) | instid1(VALU_DEP_2)
	v_fmac_f32_e32 v6, v2, v0
	v_fma_f32 v2, v0, v3, -v1
	s_delay_alu instid0(VALU_DEP_2) | instskip(NEXT) | instid1(VALU_DEP_2)
	v_cvt_f64_f32_e32 v[0:1], v6
	v_cvt_f64_f32_e32 v[2:3], v2
	s_delay_alu instid0(VALU_DEP_2) | instskip(NEXT) | instid1(VALU_DEP_2)
	v_mul_f64_e32 v[0:1], s[4:5], v[0:1]
	v_mul_f64_e32 v[2:3], s[4:5], v[2:3]
	s_delay_alu instid0(VALU_DEP_2) | instskip(NEXT) | instid1(VALU_DEP_2)
	v_cvt_f32_f64_e32 v0, v[0:1]
	v_cvt_f32_f64_e32 v1, v[2:3]
	v_add_co_u32 v2, vcc_lo, v4, s0
	s_wait_alu 0xfffd
	v_add_co_ci_u32_e32 v3, vcc_lo, s1, v5, vcc_lo
	global_store_b64 v[2:3], v[0:1], off
.LBB0_15:
	s_nop 0
	s_sendmsg sendmsg(MSG_DEALLOC_VGPRS)
	s_endpgm
	.section	.rodata,"a",@progbits
	.p2align	6, 0x0
	.amdhsa_kernel bluestein_single_back_len833_dim1_sp_op_CI_CI
		.amdhsa_group_segment_fixed_size 6664
		.amdhsa_private_segment_fixed_size 0
		.amdhsa_kernarg_size 104
		.amdhsa_user_sgpr_count 2
		.amdhsa_user_sgpr_dispatch_ptr 0
		.amdhsa_user_sgpr_queue_ptr 0
		.amdhsa_user_sgpr_kernarg_segment_ptr 1
		.amdhsa_user_sgpr_dispatch_id 0
		.amdhsa_user_sgpr_private_segment_size 0
		.amdhsa_wavefront_size32 1
		.amdhsa_uses_dynamic_stack 0
		.amdhsa_enable_private_segment 0
		.amdhsa_system_sgpr_workgroup_id_x 1
		.amdhsa_system_sgpr_workgroup_id_y 0
		.amdhsa_system_sgpr_workgroup_id_z 0
		.amdhsa_system_sgpr_workgroup_info 0
		.amdhsa_system_vgpr_workitem_id 0
		.amdhsa_next_free_vgpr 224
		.amdhsa_next_free_sgpr 14
		.amdhsa_reserve_vcc 1
		.amdhsa_float_round_mode_32 0
		.amdhsa_float_round_mode_16_64 0
		.amdhsa_float_denorm_mode_32 3
		.amdhsa_float_denorm_mode_16_64 3
		.amdhsa_fp16_overflow 0
		.amdhsa_workgroup_processor_mode 1
		.amdhsa_memory_ordered 1
		.amdhsa_forward_progress 0
		.amdhsa_round_robin_scheduling 0
		.amdhsa_exception_fp_ieee_invalid_op 0
		.amdhsa_exception_fp_denorm_src 0
		.amdhsa_exception_fp_ieee_div_zero 0
		.amdhsa_exception_fp_ieee_overflow 0
		.amdhsa_exception_fp_ieee_underflow 0
		.amdhsa_exception_fp_ieee_inexact 0
		.amdhsa_exception_int_div_zero 0
	.end_amdhsa_kernel
	.text
.Lfunc_end0:
	.size	bluestein_single_back_len833_dim1_sp_op_CI_CI, .Lfunc_end0-bluestein_single_back_len833_dim1_sp_op_CI_CI
                                        ; -- End function
	.section	.AMDGPU.csdata,"",@progbits
; Kernel info:
; codeLenInByte = 18516
; NumSgprs: 16
; NumVgprs: 224
; ScratchSize: 0
; MemoryBound: 0
; FloatMode: 240
; IeeeMode: 1
; LDSByteSize: 6664 bytes/workgroup (compile time only)
; SGPRBlocks: 1
; VGPRBlocks: 27
; NumSGPRsForWavesPerEU: 16
; NumVGPRsForWavesPerEU: 224
; Occupancy: 6
; WaveLimiterHint : 1
; COMPUTE_PGM_RSRC2:SCRATCH_EN: 0
; COMPUTE_PGM_RSRC2:USER_SGPR: 2
; COMPUTE_PGM_RSRC2:TRAP_HANDLER: 0
; COMPUTE_PGM_RSRC2:TGID_X_EN: 1
; COMPUTE_PGM_RSRC2:TGID_Y_EN: 0
; COMPUTE_PGM_RSRC2:TGID_Z_EN: 0
; COMPUTE_PGM_RSRC2:TIDIG_COMP_CNT: 0
	.text
	.p2alignl 7, 3214868480
	.fill 96, 4, 3214868480
	.type	__hip_cuid_fad5e512622a327d,@object ; @__hip_cuid_fad5e512622a327d
	.section	.bss,"aw",@nobits
	.globl	__hip_cuid_fad5e512622a327d
__hip_cuid_fad5e512622a327d:
	.byte	0                               ; 0x0
	.size	__hip_cuid_fad5e512622a327d, 1

	.ident	"AMD clang version 19.0.0git (https://github.com/RadeonOpenCompute/llvm-project roc-6.4.0 25133 c7fe45cf4b819c5991fe208aaa96edf142730f1d)"
	.section	".note.GNU-stack","",@progbits
	.addrsig
	.addrsig_sym __hip_cuid_fad5e512622a327d
	.amdgpu_metadata
---
amdhsa.kernels:
  - .args:
      - .actual_access:  read_only
        .address_space:  global
        .offset:         0
        .size:           8
        .value_kind:     global_buffer
      - .actual_access:  read_only
        .address_space:  global
        .offset:         8
        .size:           8
        .value_kind:     global_buffer
      - .actual_access:  read_only
        .address_space:  global
        .offset:         16
        .size:           8
        .value_kind:     global_buffer
      - .actual_access:  read_only
        .address_space:  global
        .offset:         24
        .size:           8
        .value_kind:     global_buffer
      - .actual_access:  read_only
        .address_space:  global
        .offset:         32
        .size:           8
        .value_kind:     global_buffer
      - .offset:         40
        .size:           8
        .value_kind:     by_value
      - .address_space:  global
        .offset:         48
        .size:           8
        .value_kind:     global_buffer
      - .address_space:  global
        .offset:         56
        .size:           8
        .value_kind:     global_buffer
      - .address_space:  global
        .offset:         64
        .size:           8
        .value_kind:     global_buffer
      - .address_space:  global
        .offset:         72
        .size:           8
        .value_kind:     global_buffer
      - .offset:         80
        .size:           4
        .value_kind:     by_value
      - .address_space:  global
        .offset:         88
        .size:           8
        .value_kind:     global_buffer
      - .address_space:  global
        .offset:         96
        .size:           8
        .value_kind:     global_buffer
    .group_segment_fixed_size: 6664
    .kernarg_segment_align: 8
    .kernarg_segment_size: 104
    .language:       OpenCL C
    .language_version:
      - 2
      - 0
    .max_flat_workgroup_size: 119
    .name:           bluestein_single_back_len833_dim1_sp_op_CI_CI
    .private_segment_fixed_size: 0
    .sgpr_count:     16
    .sgpr_spill_count: 0
    .symbol:         bluestein_single_back_len833_dim1_sp_op_CI_CI.kd
    .uniform_work_group_size: 1
    .uses_dynamic_stack: false
    .vgpr_count:     224
    .vgpr_spill_count: 0
    .wavefront_size: 32
    .workgroup_processor_mode: 1
amdhsa.target:   amdgcn-amd-amdhsa--gfx1201
amdhsa.version:
  - 1
  - 2
...

	.end_amdgpu_metadata
